;; amdgpu-corpus repo=ROCm/rocFFT kind=compiled arch=gfx906 opt=O3
	.text
	.amdgcn_target "amdgcn-amd-amdhsa--gfx906"
	.amdhsa_code_object_version 6
	.protected	bluestein_single_back_len1470_dim1_half_op_CI_CI ; -- Begin function bluestein_single_back_len1470_dim1_half_op_CI_CI
	.globl	bluestein_single_back_len1470_dim1_half_op_CI_CI
	.p2align	8
	.type	bluestein_single_back_len1470_dim1_half_op_CI_CI,@function
bluestein_single_back_len1470_dim1_half_op_CI_CI: ; @bluestein_single_back_len1470_dim1_half_op_CI_CI
; %bb.0:
	s_load_dwordx4 s[12:15], s[4:5], 0x28
	v_mul_u32_u24_e32 v1, 0x139, v0
	v_add_u32_sdwa v18, s6, v1 dst_sel:DWORD dst_unused:UNUSED_PAD src0_sel:DWORD src1_sel:WORD_1
	v_mov_b32_e32 v19, 0
	s_waitcnt lgkmcnt(0)
	v_cmp_gt_u64_e32 vcc, s[12:13], v[18:19]
	s_and_saveexec_b64 s[0:1], vcc
	s_cbranch_execz .LBB0_31
; %bb.1:
	s_load_dwordx4 s[0:3], s[4:5], 0x18
	s_load_dwordx2 s[16:17], s[4:5], 0x0
	s_waitcnt lgkmcnt(0)
	s_load_dwordx4 s[8:11], s[0:1], 0x0
	s_movk_i32 s0, 0xd2
	v_mul_lo_u16_sdwa v1, v1, s0 dst_sel:DWORD dst_unused:UNUSED_PAD src0_sel:WORD_1 src1_sel:DWORD
	v_sub_u16_e32 v36, v0, v1
	v_lshlrev_b32_e32 v31, 2, v36
	s_waitcnt lgkmcnt(0)
	v_mad_u64_u32 v[0:1], s[0:1], s10, v18, 0
	v_mad_u64_u32 v[2:3], s[0:1], s8, v36, 0
	s_mul_hi_u32 s7, s8, 0x2df
	s_mul_i32 s6, s8, 0xfffffdf3
	v_mad_u64_u32 v[4:5], s[0:1], s11, v18, v[1:2]
	s_mul_hi_u32 s11, s8, 0xfffffdf3
	s_movk_i32 s10, 0x1000
	v_mad_u64_u32 v[5:6], s[0:1], s9, v36, v[3:4]
	v_mov_b32_e32 v1, v4
	v_lshlrev_b64 v[0:1], 2, v[0:1]
	v_mov_b32_e32 v6, s15
	v_mov_b32_e32 v3, v5
	v_add_co_u32_e32 v4, vcc, s14, v0
	v_addc_co_u32_e32 v5, vcc, v6, v1, vcc
	v_lshlrev_b64 v[0:1], 2, v[2:3]
	s_mul_i32 s1, s9, 0x2df
	v_add_co_u32_e32 v0, vcc, v4, v0
	s_mul_i32 s0, s8, 0x2df
	s_add_i32 s1, s7, s1
	v_addc_co_u32_e32 v1, vcc, v5, v1, vcc
	s_mulk_i32 s9, 0xfdf3
	s_sub_i32 s7, s11, s8
	s_lshl_b64 s[14:15], s[0:1], 2
	s_add_i32 s7, s7, s9
	v_mov_b32_e32 v4, s15
	v_add_co_u32_e32 v2, vcc, s14, v0
	s_lshl_b64 s[18:19], s[6:7], 2
	v_addc_co_u32_e32 v3, vcc, v1, v4, vcc
	v_mov_b32_e32 v5, s19
	global_load_dword v6, v[0:1], off
	global_load_dword v7, v[2:3], off
	global_load_dword v38, v31, s[16:17]
	global_load_dword v35, v31, s[16:17] offset:840
	global_load_dword v33, v31, s[16:17] offset:1680
	;; [unrolled: 1-line block ×4, first 2 shown]
	v_add_co_u32_e32 v0, vcc, s18, v2
	v_addc_co_u32_e32 v1, vcc, v3, v5, vcc
	global_load_dword v8, v[0:1], off
	v_mov_b32_e32 v2, s17
	v_add_co_u32_e32 v0, vcc, s14, v0
	v_add_co_u32_e64 v16, s[6:7], s16, v31
	v_addc_co_u32_e32 v1, vcc, v1, v4, vcc
	v_addc_co_u32_e64 v17, vcc, 0, v2, s[6:7]
	global_load_dword v9, v[0:1], off
	v_add_co_u32_e32 v0, vcc, s18, v0
	v_addc_co_u32_e32 v1, vcc, v1, v5, vcc
	global_load_dword v5, v[0:1], off
	v_add_co_u32_e32 v2, vcc, s10, v16
	v_addc_co_u32_e32 v3, vcc, 0, v17, vcc
	v_add_co_u32_e32 v0, vcc, s14, v0
	v_addc_co_u32_e32 v1, vcc, v1, v4, vcc
	global_load_dword v4, v[0:1], off
	global_load_dword v32, v[2:3], off offset:524
	s_load_dwordx2 s[12:13], s[4:5], 0x38
	s_load_dwordx4 s[8:11], s[2:3], 0x0
	s_movk_i32 s0, 0x69
	v_cmp_gt_u16_e64 s[0:1], s0, v36
	s_waitcnt vmcnt(11)
	v_lshrrev_b32_e32 v2, 16, v6
	s_waitcnt vmcnt(10)
	v_lshrrev_b32_e32 v10, 16, v7
	s_waitcnt vmcnt(9)
	v_mul_f16_sdwa v3, v38, v6 dst_sel:DWORD dst_unused:UNUSED_PAD src0_sel:WORD_1 src1_sel:DWORD
	v_fma_f16 v3, v38, v2, -v3
	v_mul_f16_sdwa v2, v38, v2 dst_sel:DWORD dst_unused:UNUSED_PAD src0_sel:WORD_1 src1_sel:DWORD
	v_fma_f16 v2, v38, v6, v2
	s_waitcnt vmcnt(5)
	v_mul_f16_sdwa v11, v37, v7 dst_sel:DWORD dst_unused:UNUSED_PAD src0_sel:WORD_1 src1_sel:DWORD
	v_fma_f16 v6, v37, v10, -v11
	v_mul_f16_sdwa v10, v37, v10 dst_sel:DWORD dst_unused:UNUSED_PAD src0_sel:WORD_1 src1_sel:DWORD
	v_pack_b32_f16 v2, v2, v3
	v_fma_f16 v3, v37, v7, v10
	s_waitcnt vmcnt(4)
	v_lshrrev_b32_e32 v11, 16, v8
	v_mul_f16_sdwa v12, v35, v8 dst_sel:DWORD dst_unused:UNUSED_PAD src0_sel:WORD_1 src1_sel:DWORD
	v_mul_f16_sdwa v10, v35, v11 dst_sel:DWORD dst_unused:UNUSED_PAD src0_sel:WORD_1 src1_sel:DWORD
	v_fma_f16 v7, v35, v11, -v12
	v_pack_b32_f16 v3, v3, v6
	v_fma_f16 v6, v35, v8, v10
	ds_write_b32 v31, v3 offset:2940
	v_pack_b32_f16 v3, v6, v7
	ds_write2_b32 v31, v2, v3 offset1:210
	s_waitcnt vmcnt(3)
	v_lshrrev_b32_e32 v11, 16, v9
	v_mul_f16_sdwa v12, v34, v9 dst_sel:DWORD dst_unused:UNUSED_PAD src0_sel:WORD_1 src1_sel:DWORD
	v_mul_f16_sdwa v8, v34, v11 dst_sel:DWORD dst_unused:UNUSED_PAD src0_sel:WORD_1 src1_sel:DWORD
	v_fma_f16 v6, v34, v9, v8
	v_fma_f16 v2, v34, v11, -v12
	s_waitcnt vmcnt(2)
	v_lshrrev_b32_e32 v3, 16, v5
	v_pack_b32_f16 v2, v6, v2
	v_mul_f16_sdwa v6, v33, v3 dst_sel:DWORD dst_unused:UNUSED_PAD src0_sel:WORD_1 src1_sel:DWORD
	v_fma_f16 v6, v33, v5, v6
	v_mul_f16_sdwa v5, v33, v5 dst_sel:DWORD dst_unused:UNUSED_PAD src0_sel:WORD_1 src1_sel:DWORD
	v_fma_f16 v3, v33, v3, -v5
	v_pack_b32_f16 v3, v6, v3
	ds_write_b32 v31, v3 offset:1680
	s_waitcnt vmcnt(1)
	v_lshrrev_b32_e32 v3, 16, v4
	s_waitcnt vmcnt(0)
	v_mul_f16_sdwa v5, v32, v3 dst_sel:DWORD dst_unused:UNUSED_PAD src0_sel:WORD_1 src1_sel:DWORD
	v_fma_f16 v5, v32, v4, v5
	v_mul_f16_sdwa v4, v32, v4 dst_sel:DWORD dst_unused:UNUSED_PAD src0_sel:WORD_1 src1_sel:DWORD
	v_fma_f16 v3, v32, v3, -v4
	v_pack_b32_f16 v3, v5, v3
	v_add_u32_e32 v4, 0xe80, v31
	ds_write2_b32 v4, v2, v3 offset0:17 offset1:227
	s_and_saveexec_b64 s[2:3], s[0:1]
	s_cbranch_execz .LBB0_3
; %bb.2:
	v_mov_b32_e32 v2, s19
	v_add_co_u32_e32 v0, vcc, s18, v0
	v_addc_co_u32_e32 v1, vcc, v1, v2, vcc
	global_load_dword v2, v[0:1], off
	global_load_dword v3, v[16:17], off offset:2520
	v_mov_b32_e32 v4, s15
	v_add_co_u32_e32 v0, vcc, s14, v0
	v_addc_co_u32_e32 v1, vcc, v1, v4, vcc
	global_load_dword v4, v[0:1], off
	v_add_co_u32_e32 v0, vcc, 0x1000, v16
	v_addc_co_u32_e32 v1, vcc, 0, v17, vcc
	global_load_dword v0, v[0:1], off offset:1364
	s_waitcnt vmcnt(3)
	v_lshrrev_b32_e32 v1, 16, v2
	s_waitcnt vmcnt(2)
	v_mul_f16_sdwa v5, v3, v2 dst_sel:DWORD dst_unused:UNUSED_PAD src0_sel:WORD_1 src1_sel:DWORD
	v_mul_f16_sdwa v6, v3, v1 dst_sel:DWORD dst_unused:UNUSED_PAD src0_sel:WORD_1 src1_sel:DWORD
	v_fma_f16 v1, v3, v1, -v5
	v_fma_f16 v2, v3, v2, v6
	v_pack_b32_f16 v1, v2, v1
	ds_write_b32 v31, v1 offset:2520
	s_waitcnt vmcnt(1)
	v_lshrrev_b32_e32 v5, 16, v4
	s_waitcnt vmcnt(0)
	v_mul_f16_sdwa v7, v0, v4 dst_sel:DWORD dst_unused:UNUSED_PAD src0_sel:WORD_1 src1_sel:DWORD
	v_mul_f16_sdwa v3, v0, v5 dst_sel:DWORD dst_unused:UNUSED_PAD src0_sel:WORD_1 src1_sel:DWORD
	v_fma_f16 v5, v0, v5, -v7
	v_fma_f16 v0, v0, v4, v3
	v_pack_b32_f16 v0, v0, v5
	ds_write_b32 v31, v0 offset:5460
.LBB0_3:
	s_or_b64 exec, exec, s[2:3]
	v_add_u32_e32 v0, 0xb00, v31
	s_waitcnt lgkmcnt(0)
	s_barrier
	ds_read2_b32 v[2:3], v31 offset1:210
	ds_read2_b32 v[0:1], v0 offset0:31 offset1:241
	ds_read_b32 v4, v31 offset:1680
	ds_read_b32 v5, v31 offset:4620
                                        ; implicit-def: $vgpr6
                                        ; implicit-def: $vgpr7
	s_and_saveexec_b64 s[2:3], s[0:1]
	s_cbranch_execz .LBB0_5
; %bb.4:
	ds_read_b32 v6, v31 offset:2520
	ds_read_b32 v7, v31 offset:5460
.LBB0_5:
	s_or_b64 exec, exec, s[2:3]
	s_load_dwordx2 s[14:15], s[4:5], 0x8
	s_movk_i32 s2, 0x1a4
	v_add_co_u32_e32 v11, vcc, s2, v36
	s_movk_i32 s2, 0x276
	s_waitcnt lgkmcnt(0)
	v_pk_add_f16 v13, v3, v1 neg_lo:[0,1] neg_hi:[0,1]
	v_pk_add_f16 v1, v6, v7 neg_lo:[0,1] neg_hi:[0,1]
	v_add_co_u32_e32 v8, vcc, 0xd2, v36
	v_add_co_u32_e32 v14, vcc, s2, v36
	v_pk_add_f16 v10, v2, v0 neg_lo:[0,1] neg_hi:[0,1]
	v_pk_add_f16 v5, v4, v5 neg_lo:[0,1] neg_hi:[0,1]
	v_pk_fma_f16 v0, v6, 2.0, v1 op_sel_hi:[1,0,1] neg_lo:[0,0,1] neg_hi:[0,0,1]
	v_lshlrev_b16_e32 v6, 1, v36
	v_lshlrev_b32_e32 v30, 2, v6
	v_pk_fma_f16 v9, v2, 2.0, v10 op_sel_hi:[1,0,1] neg_lo:[0,0,1] neg_hi:[0,0,1]
	v_lshlrev_b32_e32 v40, 3, v8
	v_pk_fma_f16 v12, v3, 2.0, v13 op_sel_hi:[1,0,1] neg_lo:[0,0,1] neg_hi:[0,0,1]
	;; [unrolled: 2-line block ×3, first 2 shown]
	v_lshlrev_b32_e32 v29, 3, v14
	s_barrier
	ds_write_b64 v30, v[9:10]
	ds_write_b64 v40, v[12:13]
	;; [unrolled: 1-line block ×3, first 2 shown]
	s_and_saveexec_b64 s[2:3], s[0:1]
	s_cbranch_execz .LBB0_7
; %bb.6:
	ds_write_b64 v29, v[0:1]
.LBB0_7:
	s_or_b64 exec, exec, s[2:3]
	v_add_u32_e32 v4, 0x700, v31
	v_add_u32_e32 v6, 0xf00, v31
	s_waitcnt lgkmcnt(0)
	s_barrier
	ds_read2_b32 v[2:3], v31 offset1:210
	ds_read2_b32 v[4:5], v4 offset0:42 offset1:252
	ds_read2_b32 v[6:7], v6 offset0:20 offset1:230
	s_movk_i32 s2, 0x46
	v_cmp_gt_u16_e64 s[2:3], s2, v36
                                        ; implicit-def: $vgpr9
                                        ; implicit-def: $vgpr10
	s_and_saveexec_b64 s[4:5], s[2:3]
	s_cbranch_execz .LBB0_9
; %bb.8:
	ds_read_b32 v9, v31 offset:5600
	ds_read_b32 v0, v31 offset:1680
	;; [unrolled: 1-line block ×3, first 2 shown]
	s_waitcnt lgkmcnt(2)
	v_lshrrev_b32_e32 v10, 16, v9
.LBB0_9:
	s_or_b64 exec, exec, s[4:5]
	v_and_b32_e32 v39, 1, v36
	v_lshlrev_b32_e32 v12, 3, v39
	global_load_dwordx2 v[19:20], v12, s[14:15]
	v_lshrrev_b32_e32 v25, 1, v36
	v_mul_u32_u24_e32 v25, 6, v25
	s_waitcnt lgkmcnt(1)
	v_lshrrev_b32_e32 v12, 16, v4
	s_waitcnt lgkmcnt(0)
	v_lshrrev_b32_e32 v13, 16, v6
	v_or_b32_e32 v25, v25, v39
	v_lshrrev_b32_e32 v14, 16, v5
	v_lshrrev_b32_e32 v15, 16, v7
	;; [unrolled: 1-line block ×3, first 2 shown]
	v_lshlrev_b32_e32 v42, 2, v25
	v_lshrrev_b32_e32 v21, 16, v2
	v_lshrrev_b32_e32 v22, 16, v3
	;; [unrolled: 1-line block ×3, first 2 shown]
	s_movk_i32 s4, 0x3aee
	s_mov_b32 s5, 0xbaee
	s_waitcnt vmcnt(0)
	s_barrier
	v_mul_f16_sdwa v25, v12, v19 dst_sel:DWORD dst_unused:UNUSED_PAD src0_sel:DWORD src1_sel:WORD_1
	v_mul_f16_sdwa v26, v4, v19 dst_sel:DWORD dst_unused:UNUSED_PAD src0_sel:DWORD src1_sel:WORD_1
	;; [unrolled: 1-line block ×12, first 2 shown]
	v_fma_f16 v4, v4, v19, -v25
	v_fma_f16 v6, v6, v20, -v27
	v_fma_f16 v12, v12, v19, v26
	v_fma_f16 v13, v13, v20, v45
	v_fma_f16 v5, v5, v19, -v28
	v_fma_f16 v7, v7, v20, -v44
	v_fma_f16 v14, v14, v19, v43
	v_fma_f16 v15, v15, v20, v46
	v_fma_f16 v9, v9, v20, -v47
	v_fma_f16 v10, v10, v20, v48
	v_fma_f16 v23, v23, v19, v49
	v_fma_f16 v1, v1, v19, -v50
	v_add_f16_e32 v25, v4, v6
	v_sub_f16_e32 v45, v12, v13
	v_add_f16_e32 v46, v21, v12
	v_add_f16_e32 v12, v12, v13
	;; [unrolled: 1-line block ×5, first 2 shown]
	v_sub_f16_e32 v4, v4, v6
	v_sub_f16_e32 v47, v14, v15
	v_add_f16_e32 v48, v22, v14
	v_add_f16_e32 v14, v14, v15
	v_sub_f16_e32 v49, v23, v10
	v_add_f16_e32 v50, v24, v23
	v_add_f16_e32 v23, v23, v10
	v_fma_f16 v2, v25, -0.5, v2
	v_add_f16_e32 v25, v46, v13
	v_fma_f16 v13, v12, -0.5, v21
	v_add_f16_e32 v28, v3, v5
	v_add_f16_e32 v44, v0, v1
	v_sub_f16_e32 v5, v5, v7
	v_sub_f16_e32 v1, v1, v9
	v_fma_f16 v3, v26, -0.5, v3
	v_fma_f16 v0, v43, -0.5, v0
	v_add_f16_e32 v6, v27, v6
	v_add_f16_e32 v26, v48, v15
	v_fma_f16 v15, v14, -0.5, v22
	v_fma_f16 v21, v23, -0.5, v24
	v_fma_f16 v23, v45, s4, v2
	v_fma_f16 v24, v4, s5, v13
	v_add_f16_e32 v12, v44, v9
	v_add_f16_e32 v14, v50, v10
	v_fma_f16 v2, v45, s5, v2
	v_fma_f16 v4, v4, s4, v13
	;; [unrolled: 1-line block ×10, first 2 shown]
	v_pack_b32_f16 v0, v6, v25
	v_pack_b32_f16 v1, v23, v24
	ds_write2_b32 v42, v0, v1 offset1:2
	v_pack_b32_f16 v0, v2, v4
	ds_write_b32 v42, v0 offset:16
	v_lshrrev_b32_e32 v0, 1, v8
	v_mul_u32_u24_e32 v0, 6, v0
	v_add_f16_e32 v7, v28, v7
	v_or_b32_e32 v0, v0, v39
	v_lshlrev_b32_e32 v44, 2, v0
	v_pack_b32_f16 v0, v7, v26
	v_pack_b32_f16 v1, v27, v3
	ds_write2_b32 v44, v0, v1 offset1:2
	v_pack_b32_f16 v0, v9, v10
	v_lshrrev_b32_e32 v43, 1, v11
	ds_write_b32 v44, v0 offset:16
	s_and_saveexec_b64 s[4:5], s[2:3]
	s_cbranch_execz .LBB0_11
; %bb.10:
	v_mul_u32_u24_e32 v0, 6, v43
	v_or_b32_e32 v0, v0, v39
	s_mov_b32 s16, 0x5040100
	v_lshlrev_b32_e32 v0, 2, v0
	v_perm_b32 v1, v14, v12, s16
	v_perm_b32 v2, v22, v13, s16
	ds_write2_b32 v0, v1, v2 offset1:2
	v_perm_b32 v1, v21, v15, s16
	ds_write_b32 v0, v1 offset:16
.LBB0_11:
	s_or_b64 exec, exec, s[4:5]
	s_waitcnt lgkmcnt(0)
	s_barrier
	ds_read_b32 v11, v31
	ds_read_b32 v26, v31 offset:1176
	ds_read_b32 v25, v31 offset:2352
	;; [unrolled: 1-line block ×4, first 2 shown]
	s_movk_i32 s4, 0x54
	v_cmp_gt_u16_e64 s[4:5], s4, v36
                                        ; implicit-def: $vgpr27
                                        ; implicit-def: $vgpr28
	s_and_saveexec_b64 s[18:19], s[4:5]
	s_cbranch_execz .LBB0_13
; %bb.12:
	ds_read_b32 v9, v31 offset:840
	ds_read_b32 v12, v31 offset:2016
	;; [unrolled: 1-line block ×5, first 2 shown]
	s_waitcnt lgkmcnt(4)
	v_lshrrev_b32_e32 v10, 16, v9
	s_waitcnt lgkmcnt(3)
	v_lshrrev_b32_e32 v14, 16, v12
	;; [unrolled: 2-line block ×5, first 2 shown]
.LBB0_13:
	s_or_b64 exec, exec, s[18:19]
	s_movk_i32 s16, 0xab
	v_mul_lo_u16_sdwa v0, v36, s16 dst_sel:DWORD dst_unused:UNUSED_PAD src0_sel:BYTE_0 src1_sel:DWORD
	v_lshrrev_b16_e32 v45, 10, v0
	v_mul_lo_u16_e32 v0, 6, v45
	v_sub_u16_e32 v0, v36, v0
	v_and_b32_e32 v46, 0xff, v0
	v_lshlrev_b32_e32 v0, 4, v46
	s_mov_b32 s16, 0xaaab
	global_load_dwordx4 v[4:7], v0, s[14:15] offset:16
	v_mul_u32_u24_sdwa v0, v8, s16 dst_sel:DWORD dst_unused:UNUSED_PAD src0_sel:WORD_0 src1_sel:DWORD
	v_lshrrev_b32_e32 v55, 18, v0
	v_mul_lo_u16_e32 v0, 6, v55
	v_sub_u16_e32 v56, v8, v0
	v_lshlrev_b16_e32 v0, 4, v56
	v_mov_b32_e32 v1, s15
	v_add_co_u32_e32 v0, vcc, s14, v0
	v_addc_co_u32_e32 v1, vcc, 0, v1, vcc
	global_load_dwordx4 v[0:3], v[0:1], off offset:16
	s_waitcnt lgkmcnt(3)
	v_lshrrev_b32_e32 v8, 16, v26
	s_waitcnt lgkmcnt(2)
	v_lshrrev_b32_e32 v48, 16, v25
	;; [unrolled: 2-line block ×4, first 2 shown]
	v_lshrrev_b32_e32 v47, 16, v11
	s_movk_i32 s16, 0x3b9c
	s_mov_b32 s20, 0xbb9c
	s_movk_i32 s18, 0x38b4
	s_mov_b32 s21, 0xb8b4
	s_movk_i32 s19, 0x34f2
	v_mul_u32_u24_e32 v45, 30, v45
	s_waitcnt vmcnt(0)
	s_barrier
	v_mul_f16_sdwa v51, v8, v4 dst_sel:DWORD dst_unused:UNUSED_PAD src0_sel:DWORD src1_sel:WORD_1
	v_mul_f16_sdwa v52, v26, v4 dst_sel:DWORD dst_unused:UNUSED_PAD src0_sel:DWORD src1_sel:WORD_1
	v_mul_f16_sdwa v53, v48, v5 dst_sel:DWORD dst_unused:UNUSED_PAD src0_sel:DWORD src1_sel:WORD_1
	v_mul_f16_sdwa v57, v49, v6 dst_sel:DWORD dst_unused:UNUSED_PAD src0_sel:DWORD src1_sel:WORD_1
	v_mul_f16_sdwa v59, v50, v7 dst_sel:DWORD dst_unused:UNUSED_PAD src0_sel:DWORD src1_sel:WORD_1
	v_mul_f16_sdwa v54, v25, v5 dst_sel:DWORD dst_unused:UNUSED_PAD src0_sel:DWORD src1_sel:WORD_1
	v_mul_f16_sdwa v58, v24, v6 dst_sel:DWORD dst_unused:UNUSED_PAD src0_sel:DWORD src1_sel:WORD_1
	v_mul_f16_sdwa v60, v23, v7 dst_sel:DWORD dst_unused:UNUSED_PAD src0_sel:DWORD src1_sel:WORD_1
	v_fma_f16 v26, v26, v4, -v51
	v_fma_f16 v51, v8, v4, v52
	v_fma_f16 v25, v25, v5, -v53
	v_mul_f16_sdwa v61, v14, v0 dst_sel:DWORD dst_unused:UNUSED_PAD src0_sel:DWORD src1_sel:WORD_1
	v_mul_f16_sdwa v62, v12, v0 dst_sel:DWORD dst_unused:UNUSED_PAD src0_sel:DWORD src1_sel:WORD_1
	;; [unrolled: 1-line block ×7, first 2 shown]
	v_fma_f16 v24, v24, v6, -v57
	v_fma_f16 v52, v23, v7, -v59
	v_mul_f16_sdwa v64, v13, v1 dst_sel:DWORD dst_unused:UNUSED_PAD src0_sel:DWORD src1_sel:WORD_1
	v_fma_f16 v48, v48, v5, v54
	v_fma_f16 v49, v49, v6, v58
	;; [unrolled: 1-line block ×3, first 2 shown]
	v_fma_f16 v8, v12, v0, -v61
	v_fma_f16 v23, v14, v0, v62
	v_fma_f16 v12, v13, v1, -v63
	v_fma_f16 v13, v15, v2, -v65
	v_fma_f16 v15, v21, v2, v66
	v_fma_f16 v14, v27, v3, -v67
	v_fma_f16 v21, v28, v3, v68
	v_add_f16_e32 v27, v11, v26
	v_add_f16_e32 v28, v25, v24
	;; [unrolled: 1-line block ×3, first 2 shown]
	v_sub_f16_e32 v53, v51, v50
	v_sub_f16_e32 v54, v48, v49
	;; [unrolled: 1-line block ×6, first 2 shown]
	v_add_f16_e32 v27, v27, v25
	v_fma_f16 v28, v28, -0.5, v11
	v_fma_f16 v11, v59, -0.5, v11
	v_add_f16_e32 v62, v47, v51
	v_add_f16_e32 v57, v57, v58
	;; [unrolled: 1-line block ×4, first 2 shown]
	v_fma_f16 v60, v53, s16, v28
	v_fma_f16 v28, v53, s20, v28
	v_fma_f16 v61, v54, s20, v11
	v_fma_f16 v11, v54, s16, v11
	v_add_f16_e32 v59, v62, v48
	v_add_f16_e32 v62, v27, v52
	v_fma_f16 v27, v54, s18, v60
	v_fma_f16 v28, v54, s21, v28
	;; [unrolled: 1-line block ×6, first 2 shown]
	v_add_f16_e32 v11, v48, v49
	v_fma_f16 v11, v11, -0.5, v47
	v_sub_f16_e32 v26, v26, v52
	v_fma_f16 v60, v57, s19, v27
	v_fma_f16 v27, v26, s20, v11
	v_sub_f16_e32 v24, v25, v24
	v_fma_f16 v57, v57, s19, v28
	v_fma_f16 v25, v24, s21, v27
	v_sub_f16_e32 v27, v51, v48
	v_sub_f16_e32 v28, v50, v49
	v_fma_f16 v11, v26, s16, v11
	v_add_f16_e32 v27, v27, v28
	v_fma_f16 v11, v24, s18, v11
	v_fma_f16 v22, v22, v1, v64
	;; [unrolled: 1-line block ×3, first 2 shown]
	v_add_f16_e32 v11, v51, v50
	v_fma_f16 v11, v11, -0.5, v47
	v_fma_f16 v63, v27, s19, v25
	v_fma_f16 v25, v24, s16, v11
	v_sub_f16_e32 v27, v48, v51
	v_sub_f16_e32 v28, v49, v50
	v_fma_f16 v25, v26, s21, v25
	v_add_f16_e32 v27, v27, v28
	v_fma_f16 v11, v24, s20, v11
	v_fma_f16 v65, v27, s19, v25
	;; [unrolled: 1-line block ×3, first 2 shown]
	v_sub_f16_e32 v25, v8, v12
	v_sub_f16_e32 v26, v14, v13
	v_add_f16_e32 v25, v25, v26
	v_add_f16_e32 v26, v8, v14
	v_sub_f16_e32 v24, v22, v15
	v_fma_f16 v26, v26, -0.5, v9
	v_fma_f16 v66, v27, s19, v11
	v_sub_f16_e32 v11, v23, v21
	v_fma_f16 v27, v24, s20, v26
	v_sub_f16_e32 v28, v12, v8
	v_sub_f16_e32 v47, v13, v14
	v_fma_f16 v26, v24, s16, v26
	v_add_f16_e32 v59, v59, v49
	v_fma_f16 v27, v11, s18, v27
	v_add_f16_e32 v28, v28, v47
	;; [unrolled: 2-line block ×3, first 2 shown]
	v_fma_f16 v52, v28, s19, v27
	v_fma_f16 v50, v28, s19, v26
	v_sub_f16_e32 v28, v23, v22
	v_sub_f16_e32 v47, v21, v15
	v_add_f16_e32 v28, v28, v47
	v_add_f16_e32 v47, v23, v21
	v_sub_f16_e32 v27, v12, v13
	v_fma_f16 v47, v47, -0.5, v10
	v_sub_f16_e32 v48, v22, v23
	v_sub_f16_e32 v49, v15, v21
	;; [unrolled: 1-line block ×3, first 2 shown]
	v_add_f16_e32 v48, v48, v49
	v_fma_f16 v49, v27, s16, v47
	v_fma_f16 v47, v27, s20, v47
	v_fma_f16 v47, v26, s18, v47
	v_fma_f16 v49, v26, s21, v49
	v_fma_f16 v51, v48, s19, v47
	v_add_f16_e32 v47, v12, v13
	v_fma_f16 v53, v48, s19, v49
	v_fma_f16 v49, v47, -0.5, v9
	v_add_lshl_u32 v47, v45, v46, 2
	v_fma_f16 v45, v11, s20, v49
	v_fma_f16 v45, v24, s21, v45
	v_add_f16_e32 v48, v22, v15
	v_fma_f16 v46, v25, s19, v45
	v_pack_b32_f16 v45, v62, v59
	v_fma_f16 v54, v48, -0.5, v10
	v_pack_b32_f16 v59, v60, v63
	v_fma_f16 v48, v26, s16, v54
	ds_write2_b32 v47, v45, v59 offset1:6
	v_pack_b32_f16 v45, v61, v65
	v_pack_b32_f16 v58, v58, v66
	v_fma_f16 v48, v27, s18, v48
	ds_write2_b32 v47, v45, v58 offset0:12 offset1:18
	v_pack_b32_f16 v45, v57, v64
	v_fma_f16 v48, v28, s19, v48
	ds_write_b32 v47, v45 offset:96
	v_mad_legacy_u16 v45, v55, 30, v56
	s_and_saveexec_b64 s[18:19], s[4:5]
	s_cbranch_execz .LBB0_15
; %bb.14:
	v_mul_f16_e32 v11, 0x3b9c, v11
	v_mul_f16_e32 v26, 0x3b9c, v26
	v_add_f16_e32 v10, v10, v23
	v_add_f16_e32 v8, v9, v8
	v_mul_f16_e32 v24, 0x38b4, v24
	v_mul_f16_e32 v27, 0x38b4, v27
	v_sub_f16_e32 v26, v54, v26
	v_add_f16_e32 v11, v49, v11
	v_add_f16_e32 v10, v10, v22
	;; [unrolled: 1-line block ×3, first 2 shown]
	v_mul_f16_e32 v25, 0x34f2, v25
	v_mul_f16_e32 v28, 0x34f2, v28
	v_sub_f16_e32 v26, v26, v27
	v_add_f16_e32 v11, v24, v11
	v_add_f16_e32 v10, v10, v15
	;; [unrolled: 1-line block ×7, first 2 shown]
	v_lshlrev_b32_e32 v9, 2, v45
	v_pack_b32_f16 v8, v8, v10
	v_pack_b32_f16 v10, v11, v26
	s_mov_b32 s16, 0x5040100
	ds_write2_b32 v9, v8, v10 offset1:6
	v_perm_b32 v8, v53, v52, s16
	v_perm_b32 v10, v51, v50, s16
	ds_write2_b32 v9, v8, v10 offset0:12 offset1:18
	v_perm_b32 v8, v48, v46, s16
	ds_write_b32 v9, v8 offset:96
.LBB0_15:
	s_or_b64 exec, exec, s[18:19]
	s_movk_i32 s16, 0x89
	v_mul_lo_u16_sdwa v8, v36, s16 dst_sel:DWORD dst_unused:UNUSED_PAD src0_sel:BYTE_0 src1_sel:DWORD
	v_lshrrev_b16_e32 v25, 12, v8
	v_mul_lo_u16_e32 v8, 30, v25
	v_sub_u16_e32 v8, v36, v8
	v_and_b32_e32 v26, 0xff, v8
	v_mad_u64_u32 v[12:13], s[18:19], v26, 24, s[14:15]
	s_waitcnt lgkmcnt(0)
	s_barrier
	global_load_dwordx4 v[8:11], v[12:13], off offset:112
	global_load_dwordx2 v[21:22], v[12:13], off offset:128
	v_add_u32_e32 v56, 0x600, v31
	v_add_u32_e32 v57, 0xd00, v31
	ds_read2_b32 v[12:13], v31 offset1:210
	ds_read_b32 v27, v31 offset:5040
	ds_read2_b32 v[14:15], v56 offset0:36 offset1:246
	ds_read2_b32 v[23:24], v57 offset0:8 offset1:218
	s_movk_i32 s18, 0x2b26
	s_waitcnt lgkmcnt(3)
	v_lshrrev_b32_e32 v28, 16, v13
	s_waitcnt lgkmcnt(2)
	v_lshrrev_b32_e32 v49, 16, v27
	;; [unrolled: 2-line block ×4, first 2 shown]
	v_lshrrev_b32_e32 v55, 16, v15
	v_lshrrev_b32_e32 v58, 16, v23
	s_mov_b32 s19, 0xbcab
	s_movk_i32 s20, 0x39e0
	s_mov_b32 s21, 0xb9e0
	s_movk_i32 s22, 0x3574
	s_movk_i32 s16, 0x3b00
	s_mov_b32 s23, 0xb574
	s_movk_i32 s24, 0x370e
	v_mul_u32_u24_e32 v25, 0xd2, v25
	s_waitcnt vmcnt(0)
	s_barrier
	v_mul_f16_sdwa v60, v28, v8 dst_sel:DWORD dst_unused:UNUSED_PAD src0_sel:DWORD src1_sel:WORD_1
	v_mul_f16_sdwa v61, v13, v8 dst_sel:DWORD dst_unused:UNUSED_PAD src0_sel:DWORD src1_sel:WORD_1
	;; [unrolled: 1-line block ×12, first 2 shown]
	v_fma_f16 v13, v13, v8, -v60
	v_fma_f16 v28, v28, v8, v61
	v_fma_f16 v14, v14, v9, -v62
	v_fma_f16 v54, v54, v9, v63
	;; [unrolled: 2-line block ×6, first 2 shown]
	v_add_f16_e32 v60, v13, v27
	v_add_f16_e32 v61, v28, v49
	v_sub_f16_e32 v13, v13, v27
	v_sub_f16_e32 v27, v28, v49
	v_add_f16_e32 v28, v14, v24
	v_add_f16_e32 v49, v54, v59
	v_sub_f16_e32 v14, v14, v24
	v_sub_f16_e32 v24, v54, v59
	v_add_f16_e32 v54, v15, v23
	v_add_f16_e32 v59, v55, v58
	v_sub_f16_e32 v15, v23, v15
	v_sub_f16_e32 v23, v58, v55
	v_add_f16_e32 v55, v28, v60
	v_add_f16_e32 v58, v49, v61
	v_sub_f16_e32 v62, v28, v60
	v_sub_f16_e32 v63, v49, v61
	v_sub_f16_e32 v60, v60, v54
	v_sub_f16_e32 v61, v61, v59
	;; [unrolled: 1-line block ×4, first 2 shown]
	v_add_f16_e32 v64, v15, v14
	v_add_f16_e32 v65, v23, v24
	v_sub_f16_e32 v66, v15, v14
	v_sub_f16_e32 v67, v23, v24
	v_add_f16_e32 v54, v54, v55
	v_add_f16_e32 v55, v59, v58
	v_sub_f16_e32 v15, v13, v15
	v_sub_f16_e32 v23, v27, v23
	;; [unrolled: 1-line block ×4, first 2 shown]
	v_add_f16_e32 v13, v64, v13
	v_add_f16_e32 v27, v65, v27
	v_mul_f16_e32 v58, 0x3a52, v60
	v_mul_f16_e32 v59, 0x3a52, v61
	;; [unrolled: 1-line block ×6, first 2 shown]
	v_add_f16_e32 v68, v12, v54
	v_add_f16_sdwa v12, v12, v55 dst_sel:DWORD dst_unused:UNUSED_PAD src0_sel:WORD_1 src1_sel:DWORD
	v_mul_f16_e32 v66, 0x3b00, v14
	v_mul_f16_e32 v67, 0x3b00, v24
	v_fma_f16 v28, v28, s18, v58
	v_fma_f16 v54, v54, s19, v68
	;; [unrolled: 1-line block ×4, first 2 shown]
	v_fma_f16 v60, v62, s20, -v60
	v_fma_f16 v61, v63, s20, -v61
	;; [unrolled: 1-line block ×4, first 2 shown]
	v_fma_f16 v62, v15, s22, v64
	v_fma_f16 v63, v23, s22, v65
	v_fma_f16 v14, v14, s16, -v64
	v_fma_f16 v24, v24, s16, -v65
	;; [unrolled: 1-line block ×4, first 2 shown]
	v_add_f16_e32 v28, v28, v54
	v_add_f16_e32 v49, v49, v55
	;; [unrolled: 1-line block ×6, first 2 shown]
	v_fma_f16 v58, v13, s24, v62
	v_fma_f16 v59, v27, s24, v63
	;; [unrolled: 1-line block ×6, first 2 shown]
	v_add_f16_e32 v23, v59, v28
	v_sub_f16_e32 v27, v49, v58
	v_add_f16_e32 v62, v15, v54
	v_sub_f16_e32 v63, v55, v13
	v_sub_f16_e32 v64, v60, v24
	v_add_f16_e32 v65, v14, v61
	v_sub_f16_e32 v15, v54, v15
	v_add_f16_e32 v54, v58, v49
	v_add_lshl_u32 v49, v25, v26, 2
	v_pack_b32_f16 v12, v68, v12
	v_pack_b32_f16 v23, v23, v27
	v_mad_u64_u32 v[25:26], s[14:15], v36, 24, s[14:15]
	v_add_f16_e32 v24, v24, v60
	v_sub_f16_e32 v14, v61, v14
	v_add_f16_e32 v13, v13, v55
	ds_write2_b32 v49, v12, v23 offset1:30
	v_pack_b32_f16 v12, v62, v63
	v_pack_b32_f16 v23, v64, v65
	v_sub_f16_e32 v28, v28, v59
	ds_write2_b32 v49, v12, v23 offset0:60 offset1:90
	v_pack_b32_f16 v12, v24, v14
	v_pack_b32_f16 v13, v15, v13
	ds_write2_b32 v49, v12, v13 offset0:120 offset1:150
	v_pack_b32_f16 v12, v28, v54
	ds_write_b32 v49, v12 offset:720
	s_waitcnt lgkmcnt(0)
	s_barrier
	global_load_dwordx4 v[12:15], v[25:26], off offset:832
	global_load_dwordx2 v[23:24], v[25:26], off offset:848
	ds_read2_b32 v[25:26], v31 offset1:210
	ds_read2_b32 v[27:28], v56 offset0:36 offset1:246
	v_mov_b32_e32 v54, s17
	v_addc_co_u32_e64 v58, vcc, 0, v54, s[6:7]
	ds_read2_b32 v[54:55], v57 offset0:8 offset1:218
	ds_read_b32 v59, v31 offset:5040
	s_waitcnt lgkmcnt(3)
	v_lshrrev_b32_e32 v60, 16, v26
	s_waitcnt lgkmcnt(2)
	v_lshrrev_b32_e32 v62, 16, v28
	v_lshrrev_b32_e32 v61, 16, v27
	s_waitcnt lgkmcnt(1)
	v_lshrrev_b32_e32 v63, 16, v54
	;; [unrolled: 3-line block ×3, first 2 shown]
	s_movk_i32 s6, 0x1000
	s_waitcnt vmcnt(1)
	v_mul_f16_sdwa v66, v60, v12 dst_sel:DWORD dst_unused:UNUSED_PAD src0_sel:DWORD src1_sel:WORD_1
	v_mul_f16_sdwa v70, v62, v14 dst_sel:DWORD dst_unused:UNUSED_PAD src0_sel:DWORD src1_sel:WORD_1
	;; [unrolled: 1-line block ×3, first 2 shown]
	v_fma_f16 v26, v26, v12, -v66
	v_fma_f16 v66, v28, v14, -v70
	v_mul_f16_sdwa v28, v28, v14 dst_sel:DWORD dst_unused:UNUSED_PAD src0_sel:DWORD src1_sel:WORD_1
	v_fma_f16 v28, v62, v14, v28
	v_mul_f16_sdwa v62, v63, v15 dst_sel:DWORD dst_unused:UNUSED_PAD src0_sel:DWORD src1_sel:WORD_1
	v_fma_f16 v62, v54, v15, -v62
	v_mul_f16_sdwa v54, v54, v15 dst_sel:DWORD dst_unused:UNUSED_PAD src0_sel:DWORD src1_sel:WORD_1
	v_fma_f16 v54, v63, v15, v54
	s_waitcnt vmcnt(0)
	v_mul_f16_sdwa v63, v64, v23 dst_sel:DWORD dst_unused:UNUSED_PAD src0_sel:DWORD src1_sel:WORD_1
	v_fma_f16 v63, v55, v23, -v63
	v_mul_f16_sdwa v55, v55, v23 dst_sel:DWORD dst_unused:UNUSED_PAD src0_sel:DWORD src1_sel:WORD_1
	v_fma_f16 v55, v64, v23, v55
	v_mul_f16_sdwa v64, v65, v24 dst_sel:DWORD dst_unused:UNUSED_PAD src0_sel:DWORD src1_sel:WORD_1
	v_mul_f16_sdwa v68, v61, v13 dst_sel:DWORD dst_unused:UNUSED_PAD src0_sel:DWORD src1_sel:WORD_1
	;; [unrolled: 1-line block ×3, first 2 shown]
	v_fma_f16 v64, v59, v24, -v64
	v_mul_f16_sdwa v59, v59, v24 dst_sel:DWORD dst_unused:UNUSED_PAD src0_sel:DWORD src1_sel:WORD_1
	v_fma_f16 v60, v60, v12, v67
	v_fma_f16 v27, v27, v13, -v68
	v_fma_f16 v61, v61, v13, v69
	v_fma_f16 v59, v65, v24, v59
	v_add_f16_e32 v65, v26, v64
	v_add_f16_e32 v67, v60, v59
	v_sub_f16_e32 v26, v26, v64
	v_sub_f16_e32 v59, v60, v59
	v_add_f16_e32 v60, v27, v63
	v_add_f16_e32 v64, v61, v55
	v_sub_f16_e32 v27, v27, v63
	v_sub_f16_e32 v55, v61, v55
	;; [unrolled: 4-line block ×4, first 2 shown]
	v_sub_f16_e32 v65, v65, v61
	v_sub_f16_e32 v67, v67, v63
	v_sub_f16_e32 v60, v61, v60
	v_sub_f16_e32 v64, v63, v64
	v_add_f16_e32 v70, v62, v27
	v_add_f16_e32 v71, v28, v55
	v_sub_f16_e32 v72, v62, v27
	v_sub_f16_e32 v73, v28, v55
	v_add_f16_e32 v54, v61, v54
	v_add_f16_e32 v61, v63, v66
	v_sub_f16_e32 v62, v26, v62
	v_sub_f16_e32 v28, v59, v28
	;; [unrolled: 1-line block ×4, first 2 shown]
	v_add_f16_e32 v26, v70, v26
	v_add_f16_e32 v59, v71, v59
	v_add_f16_e32 v63, v25, v54
	v_add_f16_sdwa v25, v25, v61 dst_sel:DWORD dst_unused:UNUSED_PAD src0_sel:WORD_1 src1_sel:DWORD
	v_mul_f16_e32 v65, 0x3a52, v65
	v_mul_f16_e32 v66, 0x3a52, v67
	v_mul_f16_e32 v67, 0x2b26, v60
	v_mul_f16_e32 v70, 0x2b26, v64
	v_mul_f16_e32 v71, 0xb846, v72
	v_mul_f16_e32 v72, 0xb846, v73
	v_mul_f16_e32 v73, 0x3b00, v27
	v_mul_f16_e32 v74, 0x3b00, v55
	v_fma_f16 v54, v54, s19, v63
	v_fma_f16 v61, v61, s19, v25
	v_fma_f16 v60, v60, s18, v65
	v_fma_f16 v64, v64, s18, v66
	v_fma_f16 v67, v68, s20, -v67
	v_fma_f16 v70, v69, s20, -v70
	;; [unrolled: 1-line block ×4, first 2 shown]
	v_fma_f16 v68, v62, s22, v71
	v_fma_f16 v69, v28, s22, v72
	v_fma_f16 v27, v27, s16, -v71
	v_fma_f16 v55, v55, s16, -v72
	;; [unrolled: 1-line block ×4, first 2 shown]
	v_add_f16_e32 v60, v60, v54
	v_add_f16_e32 v64, v64, v61
	;; [unrolled: 1-line block ×6, first 2 shown]
	v_fma_f16 v65, v26, s24, v68
	v_fma_f16 v66, v59, s24, v69
	;; [unrolled: 1-line block ×6, first 2 shown]
	v_add_f16_e32 v59, v66, v60
	v_sub_f16_e32 v62, v64, v65
	v_add_f16_e32 v68, v28, v54
	v_sub_f16_e32 v69, v61, v26
	v_sub_f16_e32 v71, v67, v55
	v_add_f16_e32 v72, v27, v70
	v_pack_b32_f16 v25, v63, v25
	v_pack_b32_f16 v59, v59, v62
	v_add_f16_e32 v67, v55, v67
	v_sub_f16_e32 v27, v70, v27
	v_sub_f16_e32 v28, v54, v28
	v_add_f16_e32 v26, v26, v61
	ds_write2_b32 v31, v25, v59 offset1:210
	v_pack_b32_f16 v25, v68, v69
	v_pack_b32_f16 v59, v71, v72
	v_sub_f16_e32 v54, v60, v66
	v_add_f16_e32 v55, v65, v64
	ds_write2_b32 v56, v25, v59 offset0:36 offset1:246
	v_pack_b32_f16 v25, v67, v27
	v_pack_b32_f16 v26, v28, v26
	ds_write2_b32 v57, v25, v26 offset0:8 offset1:218
	v_pack_b32_f16 v25, v54, v55
	ds_write_b32 v31, v25 offset:5040
	v_add_co_u32_e32 v25, vcc, s6, v16
	v_addc_co_u32_e32 v26, vcc, 0, v58, vcc
	s_waitcnt lgkmcnt(0)
	s_barrier
	global_load_dword v56, v[25:26], off offset:1784
	s_movk_i32 s6, 0x16f8
	v_add_co_u32_e32 v25, vcc, s6, v16
	v_addc_co_u32_e32 v26, vcc, 0, v58, vcc
	global_load_dword v59, v[25:26], off offset:2940
	global_load_dword v60, v[25:26], off offset:840
	v_add_co_u32_e32 v27, vcc, 0x2000, v16
	v_addc_co_u32_e32 v28, vcc, 0, v58, vcc
	global_load_dword v58, v[27:28], off offset:2308
	global_load_dword v61, v[25:26], off offset:3780
	;; [unrolled: 1-line block ×3, first 2 shown]
	ds_read2_b32 v[27:28], v31 offset1:210
	s_waitcnt lgkmcnt(0)
	v_lshrrev_b32_e32 v57, 16, v27
	s_waitcnt vmcnt(5)
	v_mul_f16_sdwa v63, v57, v56 dst_sel:DWORD dst_unused:UNUSED_PAD src0_sel:DWORD src1_sel:WORD_1
	v_fma_f16 v63, v27, v56, -v63
	v_mul_f16_sdwa v27, v27, v56 dst_sel:DWORD dst_unused:UNUSED_PAD src0_sel:DWORD src1_sel:WORD_1
	v_fma_f16 v27, v57, v56, v27
	v_pack_b32_f16 v27, v63, v27
	ds_write_b32 v31, v27
	v_add_u32_e32 v27, 0xb00, v31
	ds_read2_b32 v[56:57], v27 offset0:31 offset1:241
	s_waitcnt lgkmcnt(0)
	v_lshrrev_b32_e32 v63, 16, v56
	s_waitcnt vmcnt(4)
	v_mul_f16_sdwa v64, v63, v59 dst_sel:DWORD dst_unused:UNUSED_PAD src0_sel:DWORD src1_sel:WORD_1
	v_fma_f16 v64, v56, v59, -v64
	v_mul_f16_sdwa v56, v56, v59 dst_sel:DWORD dst_unused:UNUSED_PAD src0_sel:DWORD src1_sel:WORD_1
	v_fma_f16 v56, v63, v59, v56
	v_lshrrev_b32_e32 v59, 16, v28
	s_waitcnt vmcnt(3)
	v_mul_f16_sdwa v63, v59, v60 dst_sel:DWORD dst_unused:UNUSED_PAD src0_sel:DWORD src1_sel:WORD_1
	v_fma_f16 v63, v28, v60, -v63
	v_mul_f16_sdwa v28, v28, v60 dst_sel:DWORD dst_unused:UNUSED_PAD src0_sel:DWORD src1_sel:WORD_1
	v_fma_f16 v28, v59, v60, v28
	v_lshrrev_b32_e32 v59, 16, v57
	v_pack_b32_f16 v28, v63, v28
	s_waitcnt vmcnt(1)
	v_mul_f16_sdwa v60, v59, v61 dst_sel:DWORD dst_unused:UNUSED_PAD src0_sel:DWORD src1_sel:WORD_1
	ds_read_b32 v63, v31 offset:1680
	v_fma_f16 v60, v57, v61, -v60
	v_mul_f16_sdwa v57, v57, v61 dst_sel:DWORD dst_unused:UNUSED_PAD src0_sel:DWORD src1_sel:WORD_1
	v_fma_f16 v57, v59, v61, v57
	v_pack_b32_f16 v56, v64, v56
	v_pack_b32_f16 v57, v60, v57
	ds_write2_b32 v27, v56, v57 offset0:31 offset1:241
	ds_read_b32 v56, v31 offset:4620
	s_waitcnt lgkmcnt(2)
	v_lshrrev_b32_e32 v57, 16, v63
	s_waitcnt vmcnt(0)
	v_mul_f16_sdwa v59, v57, v62 dst_sel:DWORD dst_unused:UNUSED_PAD src0_sel:DWORD src1_sel:WORD_1
	v_mul_f16_sdwa v60, v63, v62 dst_sel:DWORD dst_unused:UNUSED_PAD src0_sel:DWORD src1_sel:WORD_1
	v_fma_f16 v59, v63, v62, -v59
	v_fma_f16 v57, v57, v62, v60
	v_pack_b32_f16 v57, v59, v57
	v_add_u32_e32 v59, 0x300, v31
	ds_write2_b32 v59, v28, v57 offset0:18 offset1:228
	s_waitcnt lgkmcnt(1)
	v_lshrrev_b32_e32 v28, 16, v56
	v_mul_f16_sdwa v57, v28, v58 dst_sel:DWORD dst_unused:UNUSED_PAD src0_sel:DWORD src1_sel:WORD_1
	v_fma_f16 v57, v56, v58, -v57
	v_mul_f16_sdwa v56, v56, v58 dst_sel:DWORD dst_unused:UNUSED_PAD src0_sel:DWORD src1_sel:WORD_1
	v_fma_f16 v28, v28, v58, v56
	v_pack_b32_f16 v28, v57, v28
	ds_write_b32 v31, v28 offset:4620
	s_and_saveexec_b64 s[6:7], s[0:1]
	s_cbranch_execz .LBB0_17
; %bb.16:
	global_load_dword v28, v[25:26], off offset:2520
	v_add_co_u32_e32 v25, vcc, 0x1000, v25
	v_addc_co_u32_e32 v26, vcc, 0, v26, vcc
	global_load_dword v25, v[25:26], off offset:1364
	ds_read_b32 v26, v31 offset:2520
	ds_read_b32 v56, v31 offset:5460
	s_waitcnt lgkmcnt(1)
	v_lshrrev_b32_e32 v57, 16, v26
	s_waitcnt lgkmcnt(0)
	v_lshrrev_b32_e32 v58, 16, v56
	s_waitcnt vmcnt(1)
	v_mul_f16_sdwa v59, v57, v28 dst_sel:DWORD dst_unused:UNUSED_PAD src0_sel:DWORD src1_sel:WORD_1
	v_mul_f16_sdwa v60, v26, v28 dst_sel:DWORD dst_unused:UNUSED_PAD src0_sel:DWORD src1_sel:WORD_1
	v_fma_f16 v26, v26, v28, -v59
	v_fma_f16 v28, v57, v28, v60
	v_pack_b32_f16 v26, v26, v28
	s_waitcnt vmcnt(0)
	v_mul_f16_sdwa v28, v58, v25 dst_sel:DWORD dst_unused:UNUSED_PAD src0_sel:DWORD src1_sel:WORD_1
	v_mul_f16_sdwa v57, v56, v25 dst_sel:DWORD dst_unused:UNUSED_PAD src0_sel:DWORD src1_sel:WORD_1
	ds_write_b32 v31, v26 offset:2520
	v_fma_f16 v26, v56, v25, -v28
	v_fma_f16 v25, v58, v25, v57
	v_pack_b32_f16 v25, v26, v25
	ds_write_b32 v31, v25 offset:5460
.LBB0_17:
	s_or_b64 exec, exec, s[6:7]
	s_waitcnt lgkmcnt(0)
	s_barrier
	ds_read2_b32 v[25:26], v31 offset1:210
	ds_read2_b32 v[27:28], v27 offset0:31 offset1:241
	ds_read_b32 v58, v31 offset:1680
	ds_read_b32 v56, v31 offset:4620
	s_and_saveexec_b64 s[6:7], s[0:1]
	s_cbranch_execz .LBB0_19
; %bb.18:
	ds_read_b32 v54, v31 offset:2520
	ds_read_b32 v52, v31 offset:5460
	s_waitcnt lgkmcnt(1)
	v_lshrrev_b32_e32 v55, 16, v54
	s_waitcnt lgkmcnt(0)
	v_lshrrev_b32_e32 v53, 16, v52
.LBB0_19:
	s_or_b64 exec, exec, s[6:7]
	s_waitcnt lgkmcnt(2)
	v_pk_add_f16 v60, v25, v27 neg_lo:[0,1] neg_hi:[0,1]
	v_pk_add_f16 v27, v26, v28 neg_lo:[0,1] neg_hi:[0,1]
	s_waitcnt lgkmcnt(0)
	v_pk_add_f16 v28, v58, v56 neg_lo:[0,1] neg_hi:[0,1]
	v_sub_f16_e32 v56, v54, v52
	v_sub_f16_e32 v57, v55, v53
	v_pk_fma_f16 v59, v25, 2.0, v60 op_sel_hi:[1,0,1] neg_lo:[0,0,1] neg_hi:[0,0,1]
	v_pk_fma_f16 v26, v26, 2.0, v27 op_sel_hi:[1,0,1] neg_lo:[0,0,1] neg_hi:[0,0,1]
	v_fma_f16 v52, v54, 2.0, -v56
	v_fma_f16 v53, v55, 2.0, -v57
	s_barrier
	ds_write_b64 v30, v[59:60]
	ds_write_b64 v40, v[26:27]
	v_pk_fma_f16 v27, v58, 2.0, v28 op_sel_hi:[1,0,1] neg_lo:[0,0,1] neg_hi:[0,0,1]
	ds_write_b64 v41, v[27:28]
	s_and_saveexec_b64 s[6:7], s[0:1]
	s_cbranch_execz .LBB0_21
; %bb.20:
	s_mov_b32 s14, 0x5040100
	v_perm_b32 v26, v57, v56, s14
	v_perm_b32 v25, v53, v52, s14
	ds_write_b64 v29, v[25:26]
.LBB0_21:
	s_or_b64 exec, exec, s[6:7]
	v_add_u32_e32 v27, 0x700, v31
	v_add_u32_e32 v29, 0xf00, v31
	s_waitcnt lgkmcnt(0)
	s_barrier
	ds_read2_b32 v[25:26], v31 offset1:210
	ds_read2_b32 v[27:28], v27 offset0:42 offset1:252
	ds_read2_b32 v[29:30], v29 offset0:20 offset1:230
	s_and_saveexec_b64 s[6:7], s[2:3]
	s_cbranch_execz .LBB0_23
; %bb.22:
	ds_read_b32 v52, v31 offset:1680
	ds_read_b32 v56, v31 offset:3640
	;; [unrolled: 1-line block ×3, first 2 shown]
	s_waitcnt lgkmcnt(2)
	v_lshrrev_b32_e32 v53, 16, v52
	s_waitcnt lgkmcnt(1)
	v_lshrrev_b32_e32 v57, 16, v56
	;; [unrolled: 2-line block ×3, first 2 shown]
.LBB0_23:
	s_or_b64 exec, exec, s[6:7]
	s_waitcnt lgkmcnt(1)
	v_lshrrev_b32_e32 v41, 16, v27
	v_mul_f16_sdwa v60, v19, v41 dst_sel:DWORD dst_unused:UNUSED_PAD src0_sel:WORD_1 src1_sel:DWORD
	s_waitcnt lgkmcnt(0)
	v_lshrrev_b32_e32 v54, 16, v29
	v_fma_f16 v60, v19, v27, v60
	v_mul_f16_sdwa v27, v19, v27 dst_sel:DWORD dst_unused:UNUSED_PAD src0_sel:WORD_1 src1_sel:DWORD
	v_fma_f16 v27, v19, v41, -v27
	v_mul_f16_sdwa v41, v20, v54 dst_sel:DWORD dst_unused:UNUSED_PAD src0_sel:WORD_1 src1_sel:DWORD
	v_lshrrev_b32_e32 v58, 16, v28
	v_fma_f16 v41, v20, v29, v41
	v_mul_f16_sdwa v29, v20, v29 dst_sel:DWORD dst_unused:UNUSED_PAD src0_sel:WORD_1 src1_sel:DWORD
	v_fma_f16 v29, v20, v54, -v29
	v_mul_f16_sdwa v54, v19, v58 dst_sel:DWORD dst_unused:UNUSED_PAD src0_sel:WORD_1 src1_sel:DWORD
	v_lshrrev_b32_e32 v59, 16, v30
	v_fma_f16 v54, v19, v28, v54
	v_mul_f16_sdwa v28, v19, v28 dst_sel:DWORD dst_unused:UNUSED_PAD src0_sel:WORD_1 src1_sel:DWORD
	v_fma_f16 v28, v19, v58, -v28
	v_mul_f16_sdwa v58, v20, v59 dst_sel:DWORD dst_unused:UNUSED_PAD src0_sel:WORD_1 src1_sel:DWORD
	v_fma_f16 v58, v20, v30, v58
	v_mul_f16_sdwa v30, v20, v30 dst_sel:DWORD dst_unused:UNUSED_PAD src0_sel:WORD_1 src1_sel:DWORD
	v_fma_f16 v30, v20, v59, -v30
	v_mul_f16_sdwa v59, v19, v57 dst_sel:DWORD dst_unused:UNUSED_PAD src0_sel:WORD_1 src1_sel:DWORD
	v_fma_f16 v59, v19, v56, v59
	v_mul_f16_sdwa v56, v19, v56 dst_sel:DWORD dst_unused:UNUSED_PAD src0_sel:WORD_1 src1_sel:DWORD
	v_fma_f16 v56, v19, v57, -v56
	v_mul_f16_sdwa v19, v20, v51 dst_sel:DWORD dst_unused:UNUSED_PAD src0_sel:WORD_1 src1_sel:DWORD
	v_fma_f16 v57, v20, v50, v19
	v_mul_f16_sdwa v19, v20, v50 dst_sel:DWORD dst_unused:UNUSED_PAD src0_sel:WORD_1 src1_sel:DWORD
	v_fma_f16 v50, v20, v51, -v19
	v_add_f16_e32 v19, v25, v60
	v_add_f16_e32 v51, v19, v41
	;; [unrolled: 1-line block ×3, first 2 shown]
	v_lshrrev_b32_e32 v40, 16, v25
	v_fma_f16 v19, v19, -0.5, v25
	v_sub_f16_e32 v20, v27, v29
	s_mov_b32 s6, 0xbaee
	s_movk_i32 s7, 0x3aee
	v_fma_f16 v61, v20, s6, v19
	v_fma_f16 v62, v20, s7, v19
	v_add_f16_e32 v19, v40, v27
	v_add_f16_e32 v63, v19, v29
	;; [unrolled: 1-line block ×3, first 2 shown]
	v_fma_f16 v19, v19, -0.5, v40
	v_sub_f16_e32 v20, v60, v41
	v_fma_f16 v40, v20, s7, v19
	v_fma_f16 v41, v20, s6, v19
	v_add_f16_e32 v19, v26, v54
	v_add_f16_e32 v60, v19, v58
	;; [unrolled: 1-line block ×3, first 2 shown]
	v_lshrrev_b32_e32 v55, 16, v26
	v_fma_f16 v19, v19, -0.5, v26
	v_sub_f16_e32 v20, v28, v30
	v_fma_f16 v64, v20, s6, v19
	v_fma_f16 v19, v20, s7, v19
	v_add_f16_e32 v20, v55, v28
	v_add_f16_e32 v26, v57, v59
	v_add_f16_e32 v65, v20, v30
	v_add_f16_e32 v20, v28, v30
	v_fma_f16 v27, v26, -0.5, v52
	v_sub_f16_e32 v28, v56, v50
	v_fma_f16 v26, v28, s6, v27
	v_fma_f16 v27, v28, s7, v27
	v_add_f16_e32 v28, v56, v53
	v_add_f16_e32 v30, v50, v28
	;; [unrolled: 1-line block ×3, first 2 shown]
	v_fma_f16 v28, v28, -0.5, v53
	v_sub_f16_e32 v50, v59, v57
	v_fma_f16 v20, v20, -0.5, v55
	v_sub_f16_e32 v25, v54, v58
	v_fma_f16 v29, v50, s7, v28
	v_fma_f16 v28, v50, s6, v28
	v_pack_b32_f16 v50, v51, v63
	v_pack_b32_f16 v40, v61, v40
	v_fma_f16 v54, v25, s7, v20
	s_barrier
	ds_write2_b32 v42, v50, v40 offset1:2
	v_pack_b32_f16 v40, v62, v41
	v_fma_f16 v20, v25, s6, v20
	v_add_f16_e32 v25, v52, v59
	ds_write_b32 v42, v40 offset:16
	v_pack_b32_f16 v40, v60, v65
	v_pack_b32_f16 v41, v64, v54
	v_add_f16_e32 v25, v57, v25
	ds_write2_b32 v44, v40, v41 offset1:2
	v_pack_b32_f16 v40, v19, v20
	ds_write_b32 v44, v40 offset:16
	s_and_saveexec_b64 s[6:7], s[2:3]
	s_cbranch_execz .LBB0_25
; %bb.24:
	v_mul_u32_u24_e32 v40, 6, v43
	v_or_b32_e32 v39, v40, v39
	s_mov_b32 s2, 0x5040100
	v_lshlrev_b32_e32 v39, 2, v39
	v_perm_b32 v40, v30, v25, s2
	v_perm_b32 v41, v29, v26, s2
	ds_write2_b32 v39, v40, v41 offset1:2
	v_perm_b32 v40, v28, v27, s2
	ds_write_b32 v39, v40 offset:16
.LBB0_25:
	s_or_b64 exec, exec, s[6:7]
	s_waitcnt lgkmcnt(0)
	s_barrier
	ds_read_b32 v39, v31
	ds_read_b32 v43, v31 offset:1176
	ds_read_b32 v42, v31 offset:2352
	ds_read_b32 v41, v31 offset:3528
	ds_read_b32 v40, v31 offset:4704
	s_and_saveexec_b64 s[2:3], s[4:5]
	s_cbranch_execz .LBB0_27
; %bb.26:
	ds_read_b32 v19, v31 offset:840
	ds_read_b32 v25, v31 offset:2016
	;; [unrolled: 1-line block ×5, first 2 shown]
	s_waitcnt lgkmcnt(4)
	v_lshrrev_b32_e32 v20, 16, v19
	s_waitcnt lgkmcnt(3)
	v_lshrrev_b32_e32 v30, 16, v25
	;; [unrolled: 2-line block ×5, first 2 shown]
.LBB0_27:
	s_or_b64 exec, exec, s[2:3]
	s_waitcnt lgkmcnt(3)
	v_lshrrev_b32_e32 v50, 16, v43
	v_mul_f16_sdwa v54, v4, v50 dst_sel:DWORD dst_unused:UNUSED_PAD src0_sel:WORD_1 src1_sel:DWORD
	s_waitcnt lgkmcnt(2)
	v_lshrrev_b32_e32 v51, 16, v42
	v_fma_f16 v54, v4, v43, v54
	v_mul_f16_sdwa v43, v4, v43 dst_sel:DWORD dst_unused:UNUSED_PAD src0_sel:WORD_1 src1_sel:DWORD
	v_fma_f16 v4, v4, v50, -v43
	v_mul_f16_sdwa v43, v5, v51 dst_sel:DWORD dst_unused:UNUSED_PAD src0_sel:WORD_1 src1_sel:DWORD
	s_waitcnt lgkmcnt(1)
	v_lshrrev_b32_e32 v52, 16, v41
	v_fma_f16 v43, v5, v42, v43
	v_mul_f16_sdwa v42, v5, v42 dst_sel:DWORD dst_unused:UNUSED_PAD src0_sel:WORD_1 src1_sel:DWORD
	v_fma_f16 v5, v5, v51, -v42
	;; [unrolled: 6-line block ×3, first 2 shown]
	v_mul_f16_sdwa v41, v7, v53 dst_sel:DWORD dst_unused:UNUSED_PAD src0_sel:WORD_1 src1_sel:DWORD
	v_fma_f16 v41, v7, v40, v41
	v_mul_f16_sdwa v40, v7, v40 dst_sel:DWORD dst_unused:UNUSED_PAD src0_sel:WORD_1 src1_sel:DWORD
	v_fma_f16 v7, v7, v53, -v40
	v_add_f16_e32 v50, v43, v42
	v_fma_f16 v50, v50, -0.5, v39
	v_sub_f16_e32 v51, v4, v7
	s_mov_b32 s6, 0xbb9c
	s_movk_i32 s15, 0x3b9c
	v_fma_f16 v52, v51, s6, v50
	v_sub_f16_e32 v53, v5, v6
	s_mov_b32 s14, 0xb8b4
	v_sub_f16_e32 v55, v54, v43
	v_sub_f16_e32 v56, v41, v42
	v_fma_f16 v50, v51, s15, v50
	s_movk_i32 s16, 0x38b4
	v_fma_f16 v52, v53, s14, v52
	v_add_f16_e32 v55, v55, v56
	s_movk_i32 s7, 0x34f2
	v_fma_f16 v50, v53, s16, v50
	v_add_f16_e32 v40, v39, v54
	v_fma_f16 v52, v55, s7, v52
	v_fma_f16 v50, v55, s7, v50
	v_add_f16_e32 v55, v54, v41
	v_lshrrev_b32_e32 v44, 16, v39
	v_add_f16_e32 v40, v40, v43
	v_fma_f16 v39, v55, -0.5, v39
	v_add_f16_e32 v40, v40, v42
	v_fma_f16 v55, v53, s15, v39
	v_fma_f16 v39, v53, s6, v39
	v_add_f16_e32 v53, v5, v6
	v_add_f16_e32 v40, v40, v41
	v_sub_f16_e32 v56, v43, v54
	v_sub_f16_e32 v57, v42, v41
	v_fma_f16 v53, v53, -0.5, v44
	v_sub_f16_e32 v41, v54, v41
	v_fma_f16 v55, v51, s14, v55
	v_add_f16_e32 v56, v56, v57
	v_fma_f16 v39, v51, s16, v39
	v_fma_f16 v54, v41, s15, v53
	v_sub_f16_e32 v42, v43, v42
	v_fma_f16 v55, v56, s7, v55
	v_fma_f16 v39, v56, s7, v39
	v_fma_f16 v43, v42, s16, v54
	v_sub_f16_e32 v54, v4, v5
	v_sub_f16_e32 v56, v7, v6
	v_fma_f16 v53, v41, s6, v53
	v_add_f16_e32 v54, v54, v56
	v_fma_f16 v53, v42, s14, v53
	v_add_f16_e32 v51, v44, v4
	v_fma_f16 v43, v54, s7, v43
	v_fma_f16 v53, v54, s7, v53
	v_add_f16_e32 v54, v4, v7
	v_add_f16_e32 v51, v51, v5
	v_fma_f16 v44, v54, -0.5, v44
	v_add_f16_e32 v51, v51, v6
	v_fma_f16 v54, v42, s6, v44
	v_sub_f16_e32 v4, v5, v4
	v_sub_f16_e32 v5, v6, v7
	v_fma_f16 v6, v42, s15, v44
	v_fma_f16 v54, v41, s16, v54
	v_add_f16_e32 v4, v4, v5
	v_fma_f16 v6, v41, s14, v6
	v_fma_f16 v5, v4, s7, v54
	;; [unrolled: 1-line block ×3, first 2 shown]
	v_add_f16_e32 v51, v51, v7
	v_pack_b32_f16 v5, v55, v5
	v_pack_b32_f16 v4, v39, v4
	s_barrier
	v_pack_b32_f16 v6, v40, v51
	v_pack_b32_f16 v7, v52, v43
	ds_write2_b32 v47, v5, v4 offset0:12 offset1:18
	v_pack_b32_f16 v4, v50, v53
	ds_write2_b32 v47, v6, v7 offset1:6
	ds_write_b32 v47, v4 offset:96
	s_and_saveexec_b64 s[2:3], s[4:5]
	s_cbranch_execz .LBB0_29
; %bb.28:
	v_mul_f16_sdwa v4, v1, v26 dst_sel:DWORD dst_unused:UNUSED_PAD src0_sel:WORD_1 src1_sel:DWORD
	v_mul_f16_sdwa v5, v0, v25 dst_sel:DWORD dst_unused:UNUSED_PAD src0_sel:WORD_1 src1_sel:DWORD
	v_fma_f16 v4, v1, v29, -v4
	v_fma_f16 v5, v0, v30, -v5
	v_mul_f16_sdwa v30, v0, v30 dst_sel:DWORD dst_unused:UNUSED_PAD src0_sel:WORD_1 src1_sel:DWORD
	v_mul_f16_sdwa v29, v1, v29 dst_sel:DWORD dst_unused:UNUSED_PAD src0_sel:WORD_1 src1_sel:DWORD
	;; [unrolled: 1-line block ×4, first 2 shown]
	v_fma_f16 v0, v0, v25, v30
	v_mul_f16_sdwa v25, v3, v48 dst_sel:DWORD dst_unused:UNUSED_PAD src0_sel:WORD_1 src1_sel:DWORD
	v_fma_f16 v1, v1, v26, v29
	v_mul_f16_sdwa v26, v2, v28 dst_sel:DWORD dst_unused:UNUSED_PAD src0_sel:WORD_1 src1_sel:DWORD
	v_fma_f16 v7, v2, v28, -v7
	v_fma_f16 v39, v3, v48, -v39
	v_fma_f16 v3, v3, v46, v25
	v_fma_f16 v2, v2, v27, v26
	v_sub_f16_e32 v28, v1, v0
	v_sub_f16_e32 v29, v2, v3
	;; [unrolled: 1-line block ×7, first 2 shown]
	v_add_f16_e32 v28, v29, v28
	v_add_f16_e32 v29, v3, v0
	;; [unrolled: 1-line block ×7, first 2 shown]
	v_sub_f16_e32 v6, v4, v5
	v_sub_f16_e32 v40, v7, v39
	v_add_f16_e32 v30, v39, v5
	v_sub_f16_e32 v42, v5, v39
	v_fma_f16 v44, v44, -0.5, v20
	v_fma_f16 v48, v48, -0.5, v19
	v_add_f16_e32 v5, v5, v20
	v_add_f16_e32 v0, v1, v0
	;; [unrolled: 1-line block ×3, first 2 shown]
	v_fma_f16 v30, v30, -0.5, v20
	v_sub_f16_e32 v26, v1, v2
	v_fma_f16 v29, v29, -0.5, v19
	v_sub_f16_e32 v40, v4, v7
	v_fma_f16 v46, v25, s15, v44
	v_fma_f16 v50, v42, s6, v48
	v_add_f16_e32 v4, v4, v5
	v_add_f16_e32 v0, v2, v0
	v_fma_f16 v27, v26, s6, v30
	v_fma_f16 v41, v40, s15, v29
	;; [unrolled: 1-line block ×4, first 2 shown]
	v_add_f16_e32 v4, v7, v4
	v_add_f16_e32 v0, v3, v0
	v_fma_f16 v1, v26, s15, v30
	v_fma_f16 v3, v40, s6, v29
	;; [unrolled: 1-line block ×6, first 2 shown]
	v_add_f16_e32 v4, v39, v4
	v_fma_f16 v1, v25, s14, v1
	v_fma_f16 v2, v25, s6, v44
	;; [unrolled: 1-line block ×10, first 2 shown]
	v_lshlrev_b32_e32 v6, 2, v45
	v_pack_b32_f16 v0, v0, v4
	v_pack_b32_f16 v4, v50, v46
	v_fma_f16 v2, v43, s7, v2
	v_fma_f16 v5, v47, s7, v5
	ds_write2_b32 v6, v0, v4 offset1:6
	v_pack_b32_f16 v0, v41, v27
	v_pack_b32_f16 v1, v3, v1
	ds_write2_b32 v6, v0, v1 offset0:12 offset1:18
	v_pack_b32_f16 v0, v5, v2
	ds_write_b32 v6, v0 offset:96
.LBB0_29:
	s_or_b64 exec, exec, s[2:3]
	s_waitcnt lgkmcnt(0)
	s_barrier
	ds_read2_b32 v[0:1], v31 offset1:210
	v_add_u32_e32 v6, 0x600, v31
	ds_read2_b32 v[2:3], v6 offset0:36 offset1:246
	v_add_u32_e32 v7, 0xd00, v31
	ds_read2_b32 v[4:5], v7 offset0:8 offset1:218
	s_waitcnt lgkmcnt(2)
	v_lshrrev_b32_e32 v19, 16, v1
	v_mul_f16_sdwa v30, v8, v19 dst_sel:DWORD dst_unused:UNUSED_PAD src0_sel:WORD_1 src1_sel:DWORD
	s_waitcnt lgkmcnt(1)
	v_lshrrev_b32_e32 v25, 16, v2
	v_fma_f16 v30, v8, v1, v30
	v_mul_f16_sdwa v1, v8, v1 dst_sel:DWORD dst_unused:UNUSED_PAD src0_sel:WORD_1 src1_sel:DWORD
	ds_read_b32 v20, v31 offset:5040
	v_fma_f16 v1, v8, v19, -v1
	v_mul_f16_sdwa v8, v9, v25 dst_sel:DWORD dst_unused:UNUSED_PAD src0_sel:WORD_1 src1_sel:DWORD
	v_lshrrev_b32_e32 v26, 16, v3
	v_fma_f16 v8, v9, v2, v8
	v_mul_f16_sdwa v2, v9, v2 dst_sel:DWORD dst_unused:UNUSED_PAD src0_sel:WORD_1 src1_sel:DWORD
	v_fma_f16 v2, v9, v25, -v2
	v_mul_f16_sdwa v9, v10, v26 dst_sel:DWORD dst_unused:UNUSED_PAD src0_sel:WORD_1 src1_sel:DWORD
	s_waitcnt lgkmcnt(1)
	v_lshrrev_b32_e32 v27, 16, v4
	v_fma_f16 v9, v10, v3, v9
	v_mul_f16_sdwa v3, v10, v3 dst_sel:DWORD dst_unused:UNUSED_PAD src0_sel:WORD_1 src1_sel:DWORD
	v_fma_f16 v3, v10, v26, -v3
	v_mul_f16_sdwa v10, v11, v27 dst_sel:DWORD dst_unused:UNUSED_PAD src0_sel:WORD_1 src1_sel:DWORD
	v_lshrrev_b32_e32 v28, 16, v5
	s_waitcnt lgkmcnt(0)
	v_lshrrev_b32_e32 v29, 16, v20
	v_fma_f16 v10, v11, v4, v10
	v_mul_f16_sdwa v4, v11, v4 dst_sel:DWORD dst_unused:UNUSED_PAD src0_sel:WORD_1 src1_sel:DWORD
	v_fma_f16 v4, v11, v27, -v4
	v_mul_f16_sdwa v11, v21, v28 dst_sel:DWORD dst_unused:UNUSED_PAD src0_sel:WORD_1 src1_sel:DWORD
	v_mul_f16_sdwa v19, v22, v29 dst_sel:DWORD dst_unused:UNUSED_PAD src0_sel:WORD_1 src1_sel:DWORD
	v_fma_f16 v11, v21, v5, v11
	v_mul_f16_sdwa v5, v21, v5 dst_sel:DWORD dst_unused:UNUSED_PAD src0_sel:WORD_1 src1_sel:DWORD
	v_fma_f16 v19, v22, v20, v19
	v_mul_f16_sdwa v20, v22, v20 dst_sel:DWORD dst_unused:UNUSED_PAD src0_sel:WORD_1 src1_sel:DWORD
	v_fma_f16 v5, v21, v28, -v5
	v_fma_f16 v20, v22, v29, -v20
	v_add_f16_e32 v21, v30, v19
	v_add_f16_e32 v22, v1, v20
	v_sub_f16_e32 v1, v1, v20
	v_add_f16_e32 v20, v8, v11
	v_add_f16_e32 v25, v2, v5
	v_sub_f16_e32 v8, v8, v11
	v_sub_f16_e32 v2, v2, v5
	v_add_f16_e32 v5, v9, v10
	v_add_f16_e32 v11, v3, v4
	v_sub_f16_e32 v9, v10, v9
	;; [unrolled: 4-line block ×3, first 2 shown]
	v_sub_f16_e32 v26, v20, v21
	v_sub_f16_e32 v27, v25, v22
	;; [unrolled: 1-line block ×6, first 2 shown]
	v_add_f16_e32 v28, v9, v8
	v_add_f16_e32 v29, v3, v2
	v_sub_f16_e32 v30, v9, v8
	v_sub_f16_e32 v39, v3, v2
	v_add_f16_e32 v4, v5, v4
	v_add_f16_e32 v5, v11, v10
	v_sub_f16_e32 v9, v19, v9
	v_sub_f16_e32 v3, v1, v3
	;; [unrolled: 1-line block ×4, first 2 shown]
	v_add_f16_e32 v10, v28, v19
	v_add_f16_e32 v1, v29, v1
	;; [unrolled: 1-line block ×3, first 2 shown]
	v_add_f16_sdwa v0, v0, v5 dst_sel:DWORD dst_unused:UNUSED_PAD src0_sel:WORD_1 src1_sel:DWORD
	v_mul_f16_e32 v19, 0x3a52, v21
	v_mul_f16_e32 v21, 0x3a52, v22
	s_movk_i32 s2, 0x2b26
	v_mul_f16_e32 v22, 0x2b26, v20
	v_mul_f16_e32 v28, 0x2b26, v25
	;; [unrolled: 1-line block ×4, first 2 shown]
	s_mov_b32 s4, 0xbcab
	s_movk_i32 s5, 0x39e0
	s_mov_b32 s6, 0xb9e0
	s_mov_b32 s7, 0xb574
	;; [unrolled: 1-line block ×3, first 2 shown]
	v_mul_f16_e32 v39, 0xbb00, v8
	v_mul_f16_e32 v40, 0xbb00, v2
	v_fma_f16 v4, v4, s4, v11
	v_fma_f16 v5, v5, s4, v0
	;; [unrolled: 1-line block ×4, first 2 shown]
	v_fma_f16 v22, v26, s5, -v22
	v_fma_f16 v28, v27, s5, -v28
	;; [unrolled: 1-line block ×4, first 2 shown]
	v_fma_f16 v26, v9, s7, v29
	v_fma_f16 v27, v3, s7, v30
	s_movk_i32 s14, 0x3574
	s_mov_b32 s15, 0xb70e
	v_fma_f16 v8, v8, s3, -v29
	v_fma_f16 v2, v2, s3, -v30
	;; [unrolled: 1-line block ×4, first 2 shown]
	v_add_f16_e32 v20, v20, v4
	v_add_f16_e32 v25, v25, v5
	;; [unrolled: 1-line block ×6, first 2 shown]
	v_fma_f16 v19, v10, s15, v26
	v_fma_f16 v21, v1, s15, v27
	;; [unrolled: 1-line block ×6, first 2 shown]
	v_add_f16_e32 v3, v21, v20
	v_sub_f16_e32 v10, v25, v19
	v_add_f16_e32 v26, v1, v4
	v_sub_f16_e32 v27, v5, v9
	v_sub_f16_e32 v29, v22, v2
	v_add_f16_e32 v30, v8, v28
	v_pack_b32_f16 v0, v11, v0
	v_pack_b32_f16 v3, v3, v10
	v_add_f16_e32 v2, v2, v22
	v_sub_f16_e32 v8, v28, v8
	v_sub_f16_e32 v1, v4, v1
	v_add_f16_e32 v4, v9, v5
	s_barrier
	ds_write2_b32 v49, v0, v3 offset1:30
	v_pack_b32_f16 v0, v26, v27
	v_pack_b32_f16 v3, v29, v30
	v_sub_f16_e32 v5, v20, v21
	v_add_f16_e32 v9, v19, v25
	ds_write2_b32 v49, v0, v3 offset0:60 offset1:90
	v_pack_b32_f16 v0, v2, v8
	v_pack_b32_f16 v1, v1, v4
	ds_write2_b32 v49, v0, v1 offset0:120 offset1:150
	v_pack_b32_f16 v0, v5, v9
	ds_write_b32 v49, v0 offset:720
	s_waitcnt lgkmcnt(0)
	s_barrier
	ds_read2_b32 v[0:1], v31 offset1:210
	ds_read2_b32 v[2:3], v6 offset0:36 offset1:246
	ds_read2_b32 v[4:5], v7 offset0:8 offset1:218
	ds_read_b32 v9, v31 offset:5040
	s_movk_i32 s16, 0x40f
	s_waitcnt lgkmcnt(3)
	v_lshrrev_b32_e32 v8, 16, v1
	v_mul_f16_sdwa v22, v12, v8 dst_sel:DWORD dst_unused:UNUSED_PAD src0_sel:WORD_1 src1_sel:DWORD
	s_waitcnt lgkmcnt(2)
	v_lshrrev_b32_e32 v10, 16, v2
	v_fma_f16 v22, v12, v1, v22
	v_mul_f16_sdwa v1, v12, v1 dst_sel:DWORD dst_unused:UNUSED_PAD src0_sel:WORD_1 src1_sel:DWORD
	v_fma_f16 v1, v12, v8, -v1
	v_mul_f16_sdwa v8, v13, v10 dst_sel:DWORD dst_unused:UNUSED_PAD src0_sel:WORD_1 src1_sel:DWORD
	v_lshrrev_b32_e32 v11, 16, v3
	v_fma_f16 v8, v13, v2, v8
	v_mul_f16_sdwa v2, v13, v2 dst_sel:DWORD dst_unused:UNUSED_PAD src0_sel:WORD_1 src1_sel:DWORD
	s_waitcnt lgkmcnt(1)
	v_lshrrev_b32_e32 v20, 16, v5
	s_waitcnt lgkmcnt(0)
	v_lshrrev_b32_e32 v21, 16, v9
	v_fma_f16 v2, v13, v10, -v2
	v_mul_f16_sdwa v10, v14, v11 dst_sel:DWORD dst_unused:UNUSED_PAD src0_sel:WORD_1 src1_sel:DWORD
	v_lshrrev_b32_e32 v19, 16, v4
	v_fma_f16 v10, v14, v3, v10
	v_mul_f16_sdwa v3, v14, v3 dst_sel:DWORD dst_unused:UNUSED_PAD src0_sel:WORD_1 src1_sel:DWORD
	v_mul_f16_sdwa v12, v23, v20 dst_sel:DWORD dst_unused:UNUSED_PAD src0_sel:WORD_1 src1_sel:DWORD
	;; [unrolled: 1-line block ×3, first 2 shown]
	v_fma_f16 v3, v14, v11, -v3
	v_mul_f16_sdwa v11, v15, v19 dst_sel:DWORD dst_unused:UNUSED_PAD src0_sel:WORD_1 src1_sel:DWORD
	v_fma_f16 v12, v23, v5, v12
	v_mul_f16_sdwa v5, v23, v5 dst_sel:DWORD dst_unused:UNUSED_PAD src0_sel:WORD_1 src1_sel:DWORD
	v_fma_f16 v13, v24, v9, v13
	;; [unrolled: 2-line block ×3, first 2 shown]
	v_mul_f16_sdwa v4, v15, v4 dst_sel:DWORD dst_unused:UNUSED_PAD src0_sel:WORD_1 src1_sel:DWORD
	v_fma_f16 v5, v23, v20, -v5
	v_fma_f16 v9, v24, v21, -v9
	;; [unrolled: 1-line block ×3, first 2 shown]
	v_add_f16_e32 v14, v22, v13
	v_add_f16_e32 v15, v1, v9
	v_sub_f16_e32 v1, v1, v9
	v_add_f16_e32 v9, v8, v12
	v_add_f16_e32 v19, v2, v5
	v_sub_f16_e32 v8, v8, v12
	v_sub_f16_e32 v2, v2, v5
	v_add_f16_e32 v5, v10, v11
	v_add_f16_e32 v12, v3, v4
	v_sub_f16_e32 v10, v11, v10
	;; [unrolled: 4-line block ×3, first 2 shown]
	v_sub_f16_e32 v20, v9, v14
	v_sub_f16_e32 v21, v19, v15
	;; [unrolled: 1-line block ×6, first 2 shown]
	v_add_f16_e32 v22, v10, v8
	v_add_f16_e32 v23, v3, v2
	v_sub_f16_e32 v24, v10, v8
	v_sub_f16_e32 v25, v3, v2
	v_add_f16_e32 v4, v5, v4
	v_add_f16_e32 v5, v12, v11
	v_sub_f16_e32 v10, v13, v10
	v_sub_f16_e32 v3, v1, v3
	;; [unrolled: 1-line block ×4, first 2 shown]
	v_add_f16_e32 v11, v22, v13
	v_add_f16_e32 v1, v23, v1
	;; [unrolled: 1-line block ×3, first 2 shown]
	v_add_f16_sdwa v0, v0, v5 dst_sel:DWORD dst_unused:UNUSED_PAD src0_sel:WORD_1 src1_sel:DWORD
	v_mul_f16_e32 v13, 0x3a52, v14
	v_mul_f16_e32 v14, 0x3a52, v15
	;; [unrolled: 1-line block ×8, first 2 shown]
	v_fma_f16 v4, v4, s4, v12
	v_fma_f16 v5, v5, s4, v0
	;; [unrolled: 1-line block ×4, first 2 shown]
	v_fma_f16 v15, v20, s5, -v15
	v_fma_f16 v22, v21, s5, -v22
	;; [unrolled: 1-line block ×4, first 2 shown]
	v_fma_f16 v20, v10, s7, v23
	v_fma_f16 v21, v3, s7, v24
	v_fma_f16 v8, v8, s3, -v23
	v_fma_f16 v2, v2, s3, -v24
	;; [unrolled: 1-line block ×4, first 2 shown]
	v_add_f16_e32 v9, v9, v4
	v_add_f16_e32 v19, v19, v5
	;; [unrolled: 1-line block ×6, first 2 shown]
	v_fma_f16 v13, v11, s15, v20
	v_fma_f16 v14, v1, s15, v21
	;; [unrolled: 1-line block ×6, first 2 shown]
	v_add_f16_e32 v3, v14, v9
	v_sub_f16_e32 v11, v19, v13
	v_add_f16_e32 v20, v1, v4
	v_sub_f16_e32 v21, v5, v10
	v_sub_f16_e32 v23, v15, v2
	v_add_f16_e32 v24, v8, v22
	v_pack_b32_f16 v0, v12, v0
	v_pack_b32_f16 v3, v3, v11
	v_add_f16_e32 v2, v2, v15
	v_sub_f16_e32 v8, v22, v8
	v_sub_f16_e32 v1, v4, v1
	v_add_f16_e32 v4, v10, v5
	ds_write2_b32 v31, v0, v3 offset1:210
	v_pack_b32_f16 v0, v20, v21
	v_pack_b32_f16 v3, v23, v24
	v_sub_f16_e32 v5, v9, v14
	v_add_f16_e32 v9, v13, v19
	ds_write2_b32 v6, v0, v3 offset0:36 offset1:246
	v_pack_b32_f16 v0, v2, v8
	v_pack_b32_f16 v1, v1, v4
	ds_write2_b32 v7, v0, v1 offset0:8 offset1:218
	v_pack_b32_f16 v0, v5, v9
	ds_write_b32 v31, v0 offset:5040
	s_waitcnt lgkmcnt(0)
	s_barrier
	ds_read2_b32 v[0:1], v31 offset1:210
	s_mov_b32 s6, 0x3adcd25f
	s_mov_b32 s7, 0x3f464a89
	v_mad_u64_u32 v[3:4], s[2:3], s10, v18, 0
	s_waitcnt lgkmcnt(0)
	v_lshrrev_b32_e32 v9, 16, v0
	v_mul_f16_sdwa v2, v38, v9 dst_sel:DWORD dst_unused:UNUSED_PAD src0_sel:WORD_1 src1_sel:DWORD
	v_fma_f16 v2, v38, v0, v2
	v_cvt_f32_f16_e32 v2, v2
	s_movk_i32 s14, 0x1ff
	s_movk_i32 s15, 0xffe
	v_mul_f16_sdwa v0, v38, v0 dst_sel:DWORD dst_unused:UNUSED_PAD src0_sel:WORD_1 src1_sel:DWORD
	v_cvt_f64_f32_e32 v[5:6], v2
	v_mov_b32_e32 v2, v4
	v_mad_u64_u32 v[7:8], s[2:3], s11, v18, v[2:3]
	v_mul_f64 v[5:6], v[5:6], s[6:7]
	v_fma_f16 v0, v38, v9, -v0
	v_mov_b32_e32 v4, v7
	v_cvt_f32_f16_e32 v0, v0
	s_mov_b32 s17, 0x8000
	v_lshlrev_b64 v[3:4], 2, v[3:4]
	s_movk_i32 s18, 0x1000
	v_and_or_b32 v2, v6, s14, v5
	v_cmp_ne_u32_e32 vcc, 0, v2
	v_cndmask_b32_e64 v2, 0, 1, vcc
	v_lshrrev_b32_e32 v5, 8, v6
	v_bfe_u32 v7, v6, 20, 11
	v_and_or_b32 v5, v5, s15, v2
	v_sub_u32_e32 v8, 0x3f1, v7
	v_or_b32_e32 v2, 0x1000, v5
	v_med3_i32 v8, v8, 0, 13
	v_lshrrev_b32_e32 v10, v8, v2
	v_lshlrev_b32_e32 v8, v8, v10
	v_cmp_ne_u32_e32 vcc, v8, v2
	v_cndmask_b32_e64 v2, 0, 1, vcc
	v_or_b32_e32 v2, v10, v2
	v_add_u32_e32 v10, 0xfffffc10, v7
	v_lshl_or_b32 v7, v10, 12, v5
	v_cmp_gt_i32_e32 vcc, 1, v10
	v_cndmask_b32_e32 v2, v7, v2, vcc
	v_and_b32_e32 v7, 7, v2
	v_cmp_lt_i32_e32 vcc, 5, v7
	v_cmp_eq_u32_e64 s[2:3], 3, v7
	v_cvt_f64_f32_e32 v[7:8], v0
	v_lshrrev_b32_e32 v2, 2, v2
	s_or_b64 vcc, s[2:3], vcc
	v_addc_co_u32_e32 v9, vcc, 0, v2, vcc
	v_mul_f64 v[7:8], v[7:8], s[6:7]
	v_mov_b32_e32 v2, 0x7c00
	v_cmp_gt_i32_e32 vcc, 31, v10
	v_cndmask_b32_e32 v0, v2, v9, vcc
	v_cmp_ne_u32_e32 vcc, 0, v5
	v_cndmask_b32_e64 v5, 0, 1, vcc
	v_lshl_or_b32 v5, v5, 9, v2
	v_cmp_eq_u32_e32 vcc, s16, v10
	v_cndmask_b32_e32 v0, v0, v5, vcc
	v_lshrrev_b32_e32 v5, 16, v6
	v_and_or_b32 v11, v5, s17, v0
	v_and_or_b32 v0, v8, s14, v7
	v_cmp_ne_u32_e32 vcc, 0, v0
	v_cndmask_b32_e64 v0, 0, 1, vcc
	v_lshrrev_b32_e32 v5, 8, v8
	v_bfe_u32 v6, v8, 20, 11
	v_and_or_b32 v0, v5, s15, v0
	v_sub_u32_e32 v7, 0x3f1, v6
	v_or_b32_e32 v5, 0x1000, v0
	v_med3_i32 v7, v7, 0, 13
	v_lshrrev_b32_e32 v9, v7, v5
	v_lshlrev_b32_e32 v7, v7, v9
	v_cmp_ne_u32_e32 vcc, v7, v5
	v_cndmask_b32_e64 v5, 0, 1, vcc
	v_add_u32_e32 v6, 0xfffffc10, v6
	v_or_b32_e32 v5, v9, v5
	v_lshl_or_b32 v7, v6, 12, v0
	v_cmp_gt_i32_e32 vcc, 1, v6
	v_cndmask_b32_e32 v5, v7, v5, vcc
	v_and_b32_e32 v7, 7, v5
	v_cmp_lt_i32_e32 vcc, 5, v7
	v_cmp_eq_u32_e64 s[2:3], 3, v7
	v_lshrrev_b32_e32 v5, 2, v5
	s_or_b64 vcc, s[2:3], vcc
	v_addc_co_u32_e32 v5, vcc, 0, v5, vcc
	v_cmp_gt_i32_e32 vcc, 31, v6
	v_cndmask_b32_e32 v5, v2, v5, vcc
	v_cmp_ne_u32_e32 vcc, 0, v0
	v_cndmask_b32_e64 v0, 0, 1, vcc
	v_lshl_or_b32 v0, v0, 9, v2
	v_cmp_eq_u32_e32 vcc, s16, v6
	v_cndmask_b32_e32 v12, v5, v0, vcc
	v_add_u32_e32 v0, 0xb00, v31
	v_mad_u64_u32 v[5:6], s[2:3], s8, v36, 0
	ds_read2_b32 v[9:10], v0 offset0:31 offset1:241
	v_lshrrev_b32_e32 v8, 16, v8
	v_mov_b32_e32 v0, v6
	v_mad_u64_u32 v[6:7], s[2:3], s9, v36, v[0:1]
	s_waitcnt lgkmcnt(0)
	v_lshrrev_b32_e32 v0, 16, v9
	v_mul_f16_sdwa v7, v37, v0 dst_sel:DWORD dst_unused:UNUSED_PAD src0_sel:WORD_1 src1_sel:DWORD
	v_fma_f16 v7, v37, v9, v7
	v_cvt_f32_f16_e32 v7, v7
	v_and_or_b32 v12, v8, s17, v12
	v_and_b32_e32 v11, 0xffff, v11
	v_lshl_or_b32 v11, v12, 16, v11
	v_cvt_f64_f32_e32 v[7:8], v7
	v_mov_b32_e32 v12, s13
	v_add_co_u32_e32 v13, vcc, s12, v3
	v_mul_f64 v[7:8], v[7:8], s[6:7]
	v_addc_co_u32_e32 v12, vcc, v12, v4, vcc
	v_lshlrev_b64 v[3:4], 2, v[5:6]
	v_mul_f16_sdwa v9, v37, v9 dst_sel:DWORD dst_unused:UNUSED_PAD src0_sel:WORD_1 src1_sel:DWORD
	v_add_co_u32_e32 v3, vcc, v13, v3
	v_addc_co_u32_e32 v4, vcc, v12, v4, vcc
	v_and_or_b32 v5, v8, s14, v7
	v_cmp_ne_u32_e32 vcc, 0, v5
	v_cndmask_b32_e64 v5, 0, 1, vcc
	v_lshrrev_b32_e32 v6, 8, v8
	v_and_or_b32 v7, v6, s15, v5
	v_bfe_u32 v6, v8, 20, 11
	global_store_dword v[3:4], v11, off
	v_sub_u32_e32 v11, 0x3f1, v6
	v_or_b32_e32 v5, 0x1000, v7
	v_med3_i32 v11, v11, 0, 13
	v_lshrrev_b32_e32 v12, v11, v5
	v_lshlrev_b32_e32 v11, v11, v12
	v_cmp_ne_u32_e32 vcc, v11, v5
	v_fma_f16 v0, v37, v0, -v9
	v_cndmask_b32_e64 v5, 0, 1, vcc
	v_add_u32_e32 v11, 0xfffffc10, v6
	v_cvt_f32_f16_e32 v0, v0
	v_or_b32_e32 v5, v12, v5
	v_lshl_or_b32 v6, v11, 12, v7
	v_cmp_gt_i32_e32 vcc, 1, v11
	v_cndmask_b32_e32 v5, v6, v5, vcc
	v_and_b32_e32 v6, 7, v5
	v_cmp_lt_i32_e32 vcc, 5, v6
	v_cmp_eq_u32_e64 s[2:3], 3, v6
	v_lshrrev_b32_e32 v9, 2, v5
	v_cvt_f64_f32_e32 v[5:6], v0
	s_or_b64 vcc, s[2:3], vcc
	v_addc_co_u32_e32 v0, vcc, 0, v9, vcc
	v_mul_f64 v[5:6], v[5:6], s[6:7]
	v_cmp_gt_i32_e32 vcc, 31, v11
	v_cndmask_b32_e32 v0, v2, v0, vcc
	v_cmp_ne_u32_e32 vcc, 0, v7
	v_cndmask_b32_e64 v7, 0, 1, vcc
	v_lshl_or_b32 v7, v7, 9, v2
	v_cmp_eq_u32_e32 vcc, s16, v11
	v_cndmask_b32_e32 v0, v0, v7, vcc
	v_and_or_b32 v5, v6, s14, v5
	v_lshrrev_b32_e32 v7, 16, v8
	v_cmp_ne_u32_e32 vcc, 0, v5
	v_and_or_b32 v0, v7, s17, v0
	v_cndmask_b32_e64 v5, 0, 1, vcc
	v_lshrrev_b32_e32 v7, 8, v6
	v_bfe_u32 v8, v6, 20, 11
	v_and_or_b32 v5, v7, s15, v5
	v_sub_u32_e32 v9, 0x3f1, v8
	v_or_b32_e32 v7, 0x1000, v5
	v_med3_i32 v9, v9, 0, 13
	v_lshrrev_b32_e32 v11, v9, v7
	v_lshlrev_b32_e32 v9, v9, v11
	v_cmp_ne_u32_e32 vcc, v9, v7
	v_cndmask_b32_e64 v7, 0, 1, vcc
	v_add_u32_e32 v8, 0xfffffc10, v8
	v_or_b32_e32 v7, v11, v7
	v_lshl_or_b32 v9, v8, 12, v5
	v_cmp_gt_i32_e32 vcc, 1, v8
	v_cndmask_b32_e32 v7, v9, v7, vcc
	v_and_b32_e32 v9, 7, v7
	v_cmp_lt_i32_e32 vcc, 5, v9
	v_cmp_eq_u32_e64 s[2:3], 3, v9
	v_lshrrev_b32_e32 v7, 2, v7
	s_or_b64 vcc, s[2:3], vcc
	v_addc_co_u32_e32 v7, vcc, 0, v7, vcc
	v_cmp_gt_i32_e32 vcc, 31, v8
	v_cndmask_b32_e32 v7, v2, v7, vcc
	v_cmp_ne_u32_e32 vcc, 0, v5
	v_cndmask_b32_e64 v5, 0, 1, vcc
	v_lshl_or_b32 v5, v5, 9, v2
	v_cmp_eq_u32_e32 vcc, s16, v8
	v_cndmask_b32_e32 v5, v7, v5, vcc
	v_lshrrev_b32_e32 v6, 16, v6
	v_lshrrev_b32_e32 v8, 16, v1
	v_and_or_b32 v7, v6, s17, v5
	v_mul_f16_sdwa v5, v35, v8 dst_sel:DWORD dst_unused:UNUSED_PAD src0_sel:WORD_1 src1_sel:DWORD
	v_fma_f16 v5, v35, v1, v5
	v_cvt_f32_f16_e32 v5, v5
	s_mul_i32 s2, s9, 0x2df
	s_mul_hi_u32 s3, s8, 0x2df
	s_add_i32 s3, s3, s2
	v_cvt_f64_f32_e32 v[5:6], v5
	s_mul_i32 s2, s8, 0x2df
	v_and_b32_e32 v0, 0xffff, v0
	s_lshl_b64 s[10:11], s[2:3], 2
	v_mul_f64 v[5:6], v[5:6], s[6:7]
	v_lshl_or_b32 v0, v7, 16, v0
	v_mov_b32_e32 v7, s11
	v_add_co_u32_e32 v3, vcc, s10, v3
	v_addc_co_u32_e32 v4, vcc, v4, v7, vcc
	global_store_dword v[3:4], v0, off
	v_and_or_b32 v0, v6, s14, v5
	v_cmp_ne_u32_e32 vcc, 0, v0
	v_cndmask_b32_e64 v0, 0, 1, vcc
	v_lshrrev_b32_e32 v5, 8, v6
	v_bfe_u32 v9, v6, 20, 11
	v_and_or_b32 v5, v5, s15, v0
	v_sub_u32_e32 v11, 0x3f1, v9
	v_or_b32_e32 v0, 0x1000, v5
	v_med3_i32 v11, v11, 0, 13
	v_lshrrev_b32_e32 v12, v11, v0
	v_mul_f16_sdwa v1, v35, v1 dst_sel:DWORD dst_unused:UNUSED_PAD src0_sel:WORD_1 src1_sel:DWORD
	v_lshlrev_b32_e32 v11, v11, v12
	v_fma_f16 v1, v35, v8, -v1
	v_cmp_ne_u32_e32 vcc, v11, v0
	v_cvt_f32_f16_e32 v1, v1
	v_cndmask_b32_e64 v0, 0, 1, vcc
	v_add_u32_e32 v9, 0xfffffc10, v9
	v_or_b32_e32 v0, v12, v0
	v_lshl_or_b32 v11, v9, 12, v5
	v_cmp_gt_i32_e32 vcc, 1, v9
	v_cndmask_b32_e32 v0, v11, v0, vcc
	v_and_b32_e32 v11, 7, v0
	v_lshrrev_b32_e32 v8, 2, v0
	v_cvt_f64_f32_e32 v[0:1], v1
	v_cmp_lt_i32_e32 vcc, 5, v11
	v_cmp_eq_u32_e64 s[2:3], 3, v11
	s_or_b64 vcc, s[2:3], vcc
	v_mul_f64 v[0:1], v[0:1], s[6:7]
	v_addc_co_u32_e32 v8, vcc, 0, v8, vcc
	v_cmp_gt_i32_e32 vcc, 31, v9
	v_cndmask_b32_e32 v8, v2, v8, vcc
	v_cmp_ne_u32_e32 vcc, 0, v5
	v_cndmask_b32_e64 v5, 0, 1, vcc
	v_lshl_or_b32 v5, v5, 9, v2
	v_cmp_eq_u32_e32 vcc, s16, v9
	v_and_or_b32 v0, v1, s14, v0
	v_cndmask_b32_e32 v5, v8, v5, vcc
	v_lshrrev_b32_e32 v6, 16, v6
	v_cmp_ne_u32_e32 vcc, 0, v0
	v_and_or_b32 v5, v6, s17, v5
	v_cndmask_b32_e64 v0, 0, 1, vcc
	v_lshrrev_b32_e32 v6, 8, v1
	v_bfe_u32 v8, v1, 20, 11
	v_and_or_b32 v0, v6, s15, v0
	v_sub_u32_e32 v9, 0x3f1, v8
	v_or_b32_e32 v6, 0x1000, v0
	v_med3_i32 v9, v9, 0, 13
	v_lshrrev_b32_e32 v11, v9, v6
	v_lshlrev_b32_e32 v9, v9, v11
	v_cmp_ne_u32_e32 vcc, v9, v6
	v_cndmask_b32_e64 v6, 0, 1, vcc
	v_add_u32_e32 v8, 0xfffffc10, v8
	v_or_b32_e32 v6, v11, v6
	v_lshl_or_b32 v9, v8, 12, v0
	v_cmp_gt_i32_e32 vcc, 1, v8
	v_cndmask_b32_e32 v6, v9, v6, vcc
	v_and_b32_e32 v9, 7, v6
	v_cmp_lt_i32_e32 vcc, 5, v9
	v_cmp_eq_u32_e64 s[2:3], 3, v9
	v_lshrrev_b32_e32 v6, 2, v6
	s_or_b64 vcc, s[2:3], vcc
	v_addc_co_u32_e32 v6, vcc, 0, v6, vcc
	v_cmp_gt_i32_e32 vcc, 31, v8
	v_cndmask_b32_e32 v6, v2, v6, vcc
	v_cmp_ne_u32_e32 vcc, 0, v0
	v_cndmask_b32_e64 v0, 0, 1, vcc
	v_lshl_or_b32 v0, v0, 9, v2
	v_cmp_eq_u32_e32 vcc, s16, v8
	v_cndmask_b32_e32 v0, v6, v0, vcc
	v_lshrrev_b32_e32 v1, 16, v1
	v_lshrrev_b32_e32 v8, 16, v10
	v_and_or_b32 v6, v1, s17, v0
	v_mul_f16_sdwa v0, v34, v8 dst_sel:DWORD dst_unused:UNUSED_PAD src0_sel:WORD_1 src1_sel:DWORD
	v_fma_f16 v0, v34, v10, v0
	v_cvt_f32_f16_e32 v0, v0
	s_mul_hi_u32 s3, s8, 0xfffffdf3
	s_mul_i32 s2, s9, 0xfffffdf3
	s_sub_i32 s3, s3, s8
	v_cvt_f64_f32_e32 v[0:1], v0
	s_add_i32 s3, s3, s2
	s_mul_i32 s2, s8, 0xfffffdf3
	s_lshl_b64 s[4:5], s[2:3], 2
	v_mul_f64 v[0:1], v[0:1], s[6:7]
	v_mov_b32_e32 v9, s5
	v_add_co_u32_e32 v3, vcc, s4, v3
	v_and_b32_e32 v5, 0xffff, v5
	v_addc_co_u32_e32 v4, vcc, v4, v9, vcc
	v_lshl_or_b32 v5, v6, 16, v5
	v_and_or_b32 v0, v1, s14, v0
	v_cmp_ne_u32_e32 vcc, 0, v0
	global_store_dword v[3:4], v5, off
	v_cndmask_b32_e64 v0, 0, 1, vcc
	v_lshrrev_b32_e32 v5, 8, v1
	v_bfe_u32 v6, v1, 20, 11
	v_and_or_b32 v0, v5, s15, v0
	v_sub_u32_e32 v11, 0x3f1, v6
	v_or_b32_e32 v5, 0x1000, v0
	v_med3_i32 v11, v11, 0, 13
	v_lshrrev_b32_e32 v12, v11, v5
	v_lshlrev_b32_e32 v11, v11, v12
	v_mul_f16_sdwa v10, v34, v10 dst_sel:DWORD dst_unused:UNUSED_PAD src0_sel:WORD_1 src1_sel:DWORD
	v_cmp_ne_u32_e32 vcc, v11, v5
	v_fma_f16 v8, v34, v8, -v10
	v_cndmask_b32_e64 v5, 0, 1, vcc
	v_add_u32_e32 v11, 0xfffffc10, v6
	v_cvt_f32_f16_e32 v8, v8
	v_or_b32_e32 v5, v12, v5
	v_lshl_or_b32 v6, v11, 12, v0
	v_cmp_gt_i32_e32 vcc, 1, v11
	v_cndmask_b32_e32 v5, v6, v5, vcc
	v_and_b32_e32 v6, 7, v5
	v_cmp_lt_i32_e32 vcc, 5, v6
	v_cmp_eq_u32_e64 s[2:3], 3, v6
	v_lshrrev_b32_e32 v10, 2, v5
	v_cvt_f64_f32_e32 v[5:6], v8
	s_or_b64 vcc, s[2:3], vcc
	v_addc_co_u32_e32 v8, vcc, 0, v10, vcc
	v_mul_f64 v[5:6], v[5:6], s[6:7]
	v_cmp_gt_i32_e32 vcc, 31, v11
	v_cndmask_b32_e32 v8, v2, v8, vcc
	v_cmp_ne_u32_e32 vcc, 0, v0
	v_cndmask_b32_e64 v0, 0, 1, vcc
	v_lshl_or_b32 v0, v0, 9, v2
	v_cmp_eq_u32_e32 vcc, s16, v11
	v_cndmask_b32_e32 v0, v8, v0, vcc
	v_lshrrev_b32_e32 v1, 16, v1
	v_and_or_b32 v8, v1, s17, v0
	v_and_or_b32 v0, v6, s14, v5
	v_cmp_ne_u32_e32 vcc, 0, v0
	v_cndmask_b32_e64 v0, 0, 1, vcc
	v_lshrrev_b32_e32 v1, 8, v6
	v_bfe_u32 v5, v6, 20, 11
	v_and_or_b32 v0, v1, s15, v0
	v_sub_u32_e32 v10, 0x3f1, v5
	v_or_b32_e32 v1, 0x1000, v0
	v_med3_i32 v10, v10, 0, 13
	v_lshrrev_b32_e32 v11, v10, v1
	v_lshlrev_b32_e32 v10, v10, v11
	v_cmp_ne_u32_e32 vcc, v10, v1
	v_cndmask_b32_e64 v1, 0, 1, vcc
	v_add_u32_e32 v5, 0xfffffc10, v5
	v_or_b32_e32 v1, v11, v1
	v_lshl_or_b32 v10, v5, 12, v0
	v_cmp_gt_i32_e32 vcc, 1, v5
	v_cndmask_b32_e32 v1, v10, v1, vcc
	v_and_b32_e32 v10, 7, v1
	v_cmp_lt_i32_e32 vcc, 5, v10
	v_cmp_eq_u32_e64 s[2:3], 3, v10
	ds_read_b32 v10, v31 offset:1680
	ds_read_b32 v12, v31 offset:4620
	v_lshrrev_b32_e32 v1, 2, v1
	s_or_b64 vcc, s[2:3], vcc
	v_addc_co_u32_e32 v1, vcc, 0, v1, vcc
	v_cmp_gt_i32_e32 vcc, 31, v5
	s_waitcnt lgkmcnt(1)
	v_lshrrev_b32_e32 v13, 16, v10
	v_cndmask_b32_e32 v11, v2, v1, vcc
	v_mul_f16_sdwa v1, v33, v13 dst_sel:DWORD dst_unused:UNUSED_PAD src0_sel:WORD_1 src1_sel:DWORD
	v_fma_f16 v1, v33, v10, v1
	v_cvt_f32_f16_e32 v1, v1
	v_cmp_ne_u32_e32 vcc, 0, v0
	v_cndmask_b32_e64 v0, 0, 1, vcc
	v_lshl_or_b32 v14, v0, 9, v2
	v_cvt_f64_f32_e32 v[0:1], v1
	v_cmp_eq_u32_e32 vcc, s16, v5
	v_cndmask_b32_e32 v5, v11, v14, vcc
	v_lshrrev_b32_e32 v6, 16, v6
	v_mul_f64 v[0:1], v[0:1], s[6:7]
	v_add_co_u32_e32 v3, vcc, s10, v3
	v_and_or_b32 v5, v6, s17, v5
	v_and_b32_e32 v6, 0xffff, v8
	v_addc_co_u32_e32 v4, vcc, v4, v7, vcc
	v_lshl_or_b32 v5, v5, 16, v6
	v_and_or_b32 v0, v1, s14, v0
	v_cmp_ne_u32_e32 vcc, 0, v0
	global_store_dword v[3:4], v5, off
	v_cndmask_b32_e64 v0, 0, 1, vcc
	v_lshrrev_b32_e32 v5, 8, v1
	v_bfe_u32 v6, v1, 20, 11
	v_and_or_b32 v0, v5, s15, v0
	v_sub_u32_e32 v8, 0x3f1, v6
	v_or_b32_e32 v5, 0x1000, v0
	v_med3_i32 v8, v8, 0, 13
	v_lshrrev_b32_e32 v11, v8, v5
	v_lshlrev_b32_e32 v8, v8, v11
	v_mul_f16_sdwa v10, v33, v10 dst_sel:DWORD dst_unused:UNUSED_PAD src0_sel:WORD_1 src1_sel:DWORD
	v_cmp_ne_u32_e32 vcc, v8, v5
	v_fma_f16 v10, v33, v13, -v10
	v_cndmask_b32_e64 v5, 0, 1, vcc
	v_add_u32_e32 v8, 0xfffffc10, v6
	v_cvt_f32_f16_e32 v10, v10
	v_or_b32_e32 v5, v11, v5
	v_lshl_or_b32 v6, v8, 12, v0
	v_cmp_gt_i32_e32 vcc, 1, v8
	v_cndmask_b32_e32 v5, v6, v5, vcc
	v_and_b32_e32 v6, 7, v5
	v_cmp_lt_i32_e32 vcc, 5, v6
	v_cmp_eq_u32_e64 s[2:3], 3, v6
	v_lshrrev_b32_e32 v11, 2, v5
	v_cvt_f64_f32_e32 v[5:6], v10
	s_or_b64 vcc, s[2:3], vcc
	v_addc_co_u32_e32 v10, vcc, 0, v11, vcc
	v_mul_f64 v[5:6], v[5:6], s[6:7]
	v_cmp_gt_i32_e32 vcc, 31, v8
	v_cndmask_b32_e32 v10, v2, v10, vcc
	v_cmp_ne_u32_e32 vcc, 0, v0
	v_cndmask_b32_e64 v0, 0, 1, vcc
	v_lshl_or_b32 v0, v0, 9, v2
	v_cmp_eq_u32_e32 vcc, s16, v8
	v_cndmask_b32_e32 v0, v10, v0, vcc
	v_lshrrev_b32_e32 v1, 16, v1
	v_and_or_b32 v8, v1, s17, v0
	v_and_or_b32 v0, v6, s14, v5
	v_cmp_ne_u32_e32 vcc, 0, v0
	v_cndmask_b32_e64 v0, 0, 1, vcc
	v_lshrrev_b32_e32 v1, 8, v6
	v_bfe_u32 v5, v6, 20, 11
	v_and_or_b32 v0, v1, s15, v0
	v_sub_u32_e32 v10, 0x3f1, v5
	v_or_b32_e32 v1, 0x1000, v0
	v_med3_i32 v10, v10, 0, 13
	v_lshrrev_b32_e32 v11, v10, v1
	v_lshlrev_b32_e32 v10, v10, v11
	v_cmp_ne_u32_e32 vcc, v10, v1
	v_cndmask_b32_e64 v1, 0, 1, vcc
	v_add_u32_e32 v5, 0xfffffc10, v5
	v_or_b32_e32 v1, v11, v1
	v_lshl_or_b32 v10, v5, 12, v0
	v_cmp_gt_i32_e32 vcc, 1, v5
	v_cndmask_b32_e32 v1, v10, v1, vcc
	v_and_b32_e32 v10, 7, v1
	v_cmp_lt_i32_e32 vcc, 5, v10
	v_cmp_eq_u32_e64 s[2:3], 3, v10
	v_lshrrev_b32_e32 v1, 2, v1
	s_or_b64 vcc, s[2:3], vcc
	v_addc_co_u32_e32 v1, vcc, 0, v1, vcc
	v_cmp_gt_i32_e32 vcc, 31, v5
	s_waitcnt lgkmcnt(0)
	v_lshrrev_b32_e32 v11, 16, v12
	v_cndmask_b32_e32 v10, v2, v1, vcc
	v_mul_f16_sdwa v1, v32, v11 dst_sel:DWORD dst_unused:UNUSED_PAD src0_sel:WORD_1 src1_sel:DWORD
	v_fma_f16 v1, v32, v12, v1
	v_cvt_f32_f16_e32 v1, v1
	v_cmp_ne_u32_e32 vcc, 0, v0
	v_cndmask_b32_e64 v0, 0, 1, vcc
	v_lshl_or_b32 v13, v0, 9, v2
	v_cvt_f64_f32_e32 v[0:1], v1
	v_cmp_eq_u32_e32 vcc, s16, v5
	v_cndmask_b32_e32 v5, v10, v13, vcc
	v_lshrrev_b32_e32 v6, 16, v6
	v_mul_f64 v[0:1], v[0:1], s[6:7]
	v_add_co_u32_e32 v3, vcc, s4, v3
	v_and_or_b32 v5, v6, s17, v5
	v_and_b32_e32 v6, 0xffff, v8
	v_addc_co_u32_e32 v4, vcc, v4, v9, vcc
	v_lshl_or_b32 v5, v5, 16, v6
	v_and_or_b32 v0, v1, s14, v0
	v_cmp_ne_u32_e32 vcc, 0, v0
	global_store_dword v[3:4], v5, off
	v_cndmask_b32_e64 v0, 0, 1, vcc
	v_lshrrev_b32_e32 v5, 8, v1
	v_bfe_u32 v6, v1, 20, 11
	v_and_or_b32 v0, v5, s15, v0
	v_sub_u32_e32 v8, 0x3f1, v6
	v_or_b32_e32 v5, 0x1000, v0
	v_med3_i32 v8, v8, 0, 13
	v_lshrrev_b32_e32 v9, v8, v5
	v_lshlrev_b32_e32 v8, v8, v9
	v_cmp_ne_u32_e32 vcc, v8, v5
	v_cndmask_b32_e64 v5, 0, 1, vcc
	v_or_b32_e32 v5, v9, v5
	v_mul_f16_sdwa v9, v32, v12 dst_sel:DWORD dst_unused:UNUSED_PAD src0_sel:WORD_1 src1_sel:DWORD
	v_fma_f16 v9, v32, v11, -v9
	v_add_u32_e32 v8, 0xfffffc10, v6
	v_cvt_f32_f16_e32 v9, v9
	v_lshl_or_b32 v6, v8, 12, v0
	v_cmp_gt_i32_e32 vcc, 1, v8
	v_cndmask_b32_e32 v5, v6, v5, vcc
	v_and_b32_e32 v6, 7, v5
	v_cmp_lt_i32_e32 vcc, 5, v6
	v_cmp_eq_u32_e64 s[2:3], 3, v6
	v_lshrrev_b32_e32 v10, 2, v5
	v_cvt_f64_f32_e32 v[5:6], v9
	s_or_b64 vcc, s[2:3], vcc
	v_addc_co_u32_e32 v9, vcc, 0, v10, vcc
	v_mul_f64 v[5:6], v[5:6], s[6:7]
	v_cmp_gt_i32_e32 vcc, 31, v8
	v_cndmask_b32_e32 v9, v2, v9, vcc
	v_cmp_ne_u32_e32 vcc, 0, v0
	v_cndmask_b32_e64 v0, 0, 1, vcc
	v_lshl_or_b32 v0, v0, 9, v2
	v_cmp_eq_u32_e32 vcc, s16, v8
	v_cndmask_b32_e32 v0, v9, v0, vcc
	v_lshrrev_b32_e32 v1, 16, v1
	v_and_or_b32 v0, v1, s17, v0
	v_and_or_b32 v1, v6, s14, v5
	v_cmp_ne_u32_e32 vcc, 0, v1
	v_cndmask_b32_e64 v1, 0, 1, vcc
	v_lshrrev_b32_e32 v5, 8, v6
	v_bfe_u32 v8, v6, 20, 11
	v_and_or_b32 v1, v5, s15, v1
	v_sub_u32_e32 v9, 0x3f1, v8
	v_or_b32_e32 v5, 0x1000, v1
	v_med3_i32 v9, v9, 0, 13
	v_lshrrev_b32_e32 v10, v9, v5
	v_lshlrev_b32_e32 v9, v9, v10
	v_cmp_ne_u32_e32 vcc, v9, v5
	v_cndmask_b32_e64 v5, 0, 1, vcc
	v_add_u32_e32 v8, 0xfffffc10, v8
	v_or_b32_e32 v5, v10, v5
	v_lshl_or_b32 v9, v8, 12, v1
	v_cmp_gt_i32_e32 vcc, 1, v8
	v_cndmask_b32_e32 v5, v9, v5, vcc
	v_and_b32_e32 v9, 7, v5
	v_cmp_lt_i32_e32 vcc, 5, v9
	v_cmp_eq_u32_e64 s[2:3], 3, v9
	v_lshrrev_b32_e32 v5, 2, v5
	s_or_b64 vcc, s[2:3], vcc
	v_addc_co_u32_e32 v5, vcc, 0, v5, vcc
	v_cmp_gt_i32_e32 vcc, 31, v8
	v_cndmask_b32_e32 v5, v2, v5, vcc
	v_cmp_ne_u32_e32 vcc, 0, v1
	v_cndmask_b32_e64 v1, 0, 1, vcc
	v_lshl_or_b32 v1, v1, 9, v2
	v_cmp_eq_u32_e32 vcc, s16, v8
	v_cndmask_b32_e32 v1, v5, v1, vcc
	v_lshrrev_b32_e32 v5, 16, v6
	v_and_or_b32 v1, v5, s17, v1
	v_and_b32_e32 v0, 0xffff, v0
	v_lshl_or_b32 v5, v1, 16, v0
	v_add_co_u32_e32 v0, vcc, s10, v3
	v_addc_co_u32_e32 v1, vcc, v4, v7, vcc
	global_store_dword v[0:1], v5, off
	s_and_b64 exec, exec, s[0:1]
	s_cbranch_execz .LBB0_31
; %bb.30:
	global_load_dword v5, v[16:17], off offset:2520
	v_add_co_u32_e32 v3, vcc, s18, v16
	v_addc_co_u32_e32 v4, vcc, 0, v17, vcc
	global_load_dword v9, v[3:4], off offset:1364
	ds_read_b32 v3, v31 offset:2520
	ds_read_b32 v10, v31 offset:5460
	v_mov_b32_e32 v12, s5
	v_add_co_u32_e32 v0, vcc, s4, v0
	s_waitcnt lgkmcnt(1)
	v_lshrrev_b32_e32 v4, 16, v3
	s_waitcnt lgkmcnt(0)
	v_lshrrev_b32_e32 v11, 16, v10
	v_addc_co_u32_e32 v1, vcc, v1, v12, vcc
	s_waitcnt vmcnt(1)
	v_mul_f16_sdwa v6, v4, v5 dst_sel:DWORD dst_unused:UNUSED_PAD src0_sel:DWORD src1_sel:WORD_1
	v_mul_f16_sdwa v7, v3, v5 dst_sel:DWORD dst_unused:UNUSED_PAD src0_sel:DWORD src1_sel:WORD_1
	v_fma_f16 v3, v3, v5, v6
	v_fma_f16 v4, v5, v4, -v7
	v_cvt_f32_f16_e32 v3, v3
	s_waitcnt vmcnt(0)
	v_mul_f16_sdwa v5, v11, v9 dst_sel:DWORD dst_unused:UNUSED_PAD src0_sel:DWORD src1_sel:WORD_1
	v_cvt_f32_f16_e32 v6, v4
	v_fma_f16 v5, v10, v9, v5
	v_cvt_f32_f16_e32 v7, v5
	v_cvt_f64_f32_e32 v[3:4], v3
	v_cvt_f64_f32_e32 v[5:6], v6
	;; [unrolled: 1-line block ×3, first 2 shown]
	v_mul_f64 v[3:4], v[3:4], s[6:7]
	v_mul_f64 v[5:6], v[5:6], s[6:7]
	;; [unrolled: 1-line block ×3, first 2 shown]
	v_and_or_b32 v3, v4, s14, v3
	v_and_or_b32 v5, v6, s14, v5
	v_cmp_ne_u32_e32 vcc, 0, v3
	v_lshrrev_b32_e32 v12, 8, v4
	v_bfe_u32 v13, v4, 20, 11
	v_bfe_u32 v15, v6, 20, 11
	v_cndmask_b32_e64 v3, 0, 1, vcc
	v_cmp_ne_u32_e32 vcc, 0, v5
	v_and_or_b32 v7, v8, s14, v7
	v_lshrrev_b32_e32 v14, 8, v6
	v_sub_u32_e32 v16, 0x3f1, v13
	v_cndmask_b32_e64 v5, 0, 1, vcc
	v_sub_u32_e32 v17, 0x3f1, v15
	v_bfe_u32 v19, v8, 20, 11
	v_and_or_b32 v3, v12, s15, v3
	v_cmp_ne_u32_e32 vcc, 0, v7
	v_lshrrev_b32_e32 v18, 8, v8
	v_med3_i32 v12, v16, 0, 13
	v_and_or_b32 v5, v14, s15, v5
	v_med3_i32 v14, v17, 0, 13
	v_cndmask_b32_e64 v7, 0, 1, vcc
	v_sub_u32_e32 v16, 0x3f1, v19
	v_add_u32_e32 v17, 0xfffffc10, v19
	v_or_b32_e32 v19, 0x1000, v3
	v_add_u32_e32 v13, 0xfffffc10, v13
	v_cmp_ne_u32_e32 vcc, 0, v3
	v_or_b32_e32 v21, 0x1000, v5
	v_and_or_b32 v7, v18, s15, v7
	v_lshrrev_b32_e32 v18, v12, v19
	v_add_u32_e32 v15, 0xfffffc10, v15
	v_lshl_or_b32 v20, v13, 12, v3
	v_cndmask_b32_e64 v3, 0, 1, vcc
	v_cmp_ne_u32_e32 vcc, 0, v5
	v_med3_i32 v16, v16, 0, 13
	v_lshrrev_b32_e32 v23, v14, v21
	v_or_b32_e32 v24, 0x1000, v7
	v_lshlrev_b32_e32 v12, v12, v18
	v_lshl_or_b32 v22, v15, 12, v5
	v_cndmask_b32_e64 v5, 0, 1, vcc
	v_lshlrev_b32_e32 v14, v14, v23
	v_lshrrev_b32_e32 v25, v16, v24
	v_cmp_ne_u32_e32 vcc, v12, v19
	v_cndmask_b32_e64 v12, 0, 1, vcc
	v_cmp_ne_u32_e32 vcc, v14, v21
	v_lshlrev_b32_e32 v16, v16, v25
	v_cndmask_b32_e64 v14, 0, 1, vcc
	v_cmp_ne_u32_e32 vcc, v16, v24
	v_or_b32_e32 v12, v18, v12
	v_cndmask_b32_e64 v16, 0, 1, vcc
	v_cmp_gt_i32_e32 vcc, 1, v13
	v_cndmask_b32_e32 v12, v20, v12, vcc
	v_or_b32_e32 v14, v23, v14
	v_cmp_gt_i32_e32 vcc, 1, v15
	v_and_b32_e32 v18, 7, v12
	v_cndmask_b32_e32 v14, v22, v14, vcc
	v_cmp_lt_i32_e32 vcc, 5, v18
	v_cmp_eq_u32_e64 s[0:1], 3, v18
	v_lshrrev_b32_e32 v12, 2, v12
	v_and_b32_e32 v19, 7, v14
	s_or_b64 vcc, s[0:1], vcc
	v_cmp_lt_i32_e64 s[2:3], 5, v19
	v_cmp_eq_u32_e64 s[4:5], 3, v19
	v_addc_co_u32_e32 v12, vcc, 0, v12, vcc
	v_lshrrev_b32_e32 v14, 2, v14
	s_or_b64 vcc, s[4:5], s[2:3]
	v_addc_co_u32_e32 v14, vcc, 0, v14, vcc
	v_cmp_gt_i32_e32 vcc, 31, v13
	v_cndmask_b32_e32 v12, v2, v12, vcc
	v_cmp_gt_i32_e32 vcc, 31, v15
	v_lshl_or_b32 v3, v3, 9, v2
	v_cndmask_b32_e32 v14, v2, v14, vcc
	v_cmp_eq_u32_e32 vcc, s16, v13
	v_lshl_or_b32 v5, v5, 9, v2
	v_cndmask_b32_e32 v3, v12, v3, vcc
	v_cmp_eq_u32_e32 vcc, s16, v15
	v_lshrrev_b32_e32 v4, 16, v4
	v_lshrrev_b32_e32 v6, 16, v6
	v_cndmask_b32_e32 v5, v14, v5, vcc
	v_and_or_b32 v3, v4, s17, v3
	v_and_or_b32 v4, v6, s17, v5
	v_mul_f16_sdwa v5, v10, v9 dst_sel:DWORD dst_unused:UNUSED_PAD src0_sel:DWORD src1_sel:WORD_1
	v_and_b32_e32 v3, 0xffff, v3
	v_fma_f16 v5, v9, v11, -v5
	v_lshl_or_b32 v3, v4, 16, v3
	v_cvt_f32_f16_e32 v5, v5
	v_or_b32_e32 v16, v25, v16
	global_store_dword v[0:1], v3, off
	v_lshl_or_b32 v3, v17, 12, v7
	v_cmp_gt_i32_e32 vcc, 1, v17
	v_cndmask_b32_e32 v3, v3, v16, vcc
	v_and_b32_e32 v4, 7, v3
	v_cmp_lt_i32_e32 vcc, 5, v4
	v_cmp_eq_u32_e64 s[0:1], 3, v4
	v_lshrrev_b32_e32 v6, 2, v3
	v_cvt_f64_f32_e32 v[3:4], v5
	s_or_b64 vcc, s[0:1], vcc
	v_addc_co_u32_e32 v5, vcc, 0, v6, vcc
	v_mul_f64 v[3:4], v[3:4], s[6:7]
	v_cmp_gt_i32_e32 vcc, 31, v17
	v_cndmask_b32_e32 v5, v2, v5, vcc
	v_cmp_ne_u32_e32 vcc, 0, v7
	v_cndmask_b32_e64 v6, 0, 1, vcc
	v_lshl_or_b32 v6, v6, 9, v2
	v_cmp_eq_u32_e32 vcc, s16, v17
	v_cndmask_b32_e32 v5, v5, v6, vcc
	v_and_or_b32 v3, v4, s14, v3
	v_lshrrev_b32_e32 v6, 16, v8
	v_cmp_ne_u32_e32 vcc, 0, v3
	v_and_or_b32 v5, v6, s17, v5
	v_cndmask_b32_e64 v3, 0, 1, vcc
	v_lshrrev_b32_e32 v6, 8, v4
	v_bfe_u32 v7, v4, 20, 11
	v_and_or_b32 v3, v6, s15, v3
	v_sub_u32_e32 v8, 0x3f1, v7
	v_or_b32_e32 v6, 0x1000, v3
	v_med3_i32 v8, v8, 0, 13
	v_lshrrev_b32_e32 v9, v8, v6
	v_lshlrev_b32_e32 v8, v8, v9
	v_cmp_ne_u32_e32 vcc, v8, v6
	v_cndmask_b32_e64 v6, 0, 1, vcc
	v_add_u32_e32 v7, 0xfffffc10, v7
	v_or_b32_e32 v6, v9, v6
	v_lshl_or_b32 v8, v7, 12, v3
	v_cmp_gt_i32_e32 vcc, 1, v7
	v_cndmask_b32_e32 v6, v8, v6, vcc
	v_and_b32_e32 v8, 7, v6
	v_cmp_lt_i32_e32 vcc, 5, v8
	v_cmp_eq_u32_e64 s[0:1], 3, v8
	v_lshrrev_b32_e32 v6, 2, v6
	s_or_b64 vcc, s[0:1], vcc
	v_addc_co_u32_e32 v6, vcc, 0, v6, vcc
	v_cmp_gt_i32_e32 vcc, 31, v7
	v_cndmask_b32_e32 v6, v2, v6, vcc
	v_cmp_ne_u32_e32 vcc, 0, v3
	v_cndmask_b32_e64 v3, 0, 1, vcc
	v_lshl_or_b32 v2, v3, 9, v2
	v_cmp_eq_u32_e32 vcc, s16, v7
	v_cndmask_b32_e32 v2, v6, v2, vcc
	v_lshrrev_b32_e32 v3, 16, v4
	v_and_or_b32 v2, v3, s17, v2
	v_and_b32_e32 v3, 0xffff, v5
	v_lshl_or_b32 v2, v2, 16, v3
	v_mov_b32_e32 v3, s11
	v_add_co_u32_e32 v0, vcc, s10, v0
	v_addc_co_u32_e32 v1, vcc, v1, v3, vcc
	global_store_dword v[0:1], v2, off
.LBB0_31:
	s_endpgm
	.section	.rodata,"a",@progbits
	.p2align	6, 0x0
	.amdhsa_kernel bluestein_single_back_len1470_dim1_half_op_CI_CI
		.amdhsa_group_segment_fixed_size 5880
		.amdhsa_private_segment_fixed_size 0
		.amdhsa_kernarg_size 104
		.amdhsa_user_sgpr_count 6
		.amdhsa_user_sgpr_private_segment_buffer 1
		.amdhsa_user_sgpr_dispatch_ptr 0
		.amdhsa_user_sgpr_queue_ptr 0
		.amdhsa_user_sgpr_kernarg_segment_ptr 1
		.amdhsa_user_sgpr_dispatch_id 0
		.amdhsa_user_sgpr_flat_scratch_init 0
		.amdhsa_user_sgpr_private_segment_size 0
		.amdhsa_uses_dynamic_stack 0
		.amdhsa_system_sgpr_private_segment_wavefront_offset 0
		.amdhsa_system_sgpr_workgroup_id_x 1
		.amdhsa_system_sgpr_workgroup_id_y 0
		.amdhsa_system_sgpr_workgroup_id_z 0
		.amdhsa_system_sgpr_workgroup_info 0
		.amdhsa_system_vgpr_workitem_id 0
		.amdhsa_next_free_vgpr 75
		.amdhsa_next_free_sgpr 25
		.amdhsa_reserve_vcc 1
		.amdhsa_reserve_flat_scratch 0
		.amdhsa_float_round_mode_32 0
		.amdhsa_float_round_mode_16_64 0
		.amdhsa_float_denorm_mode_32 3
		.amdhsa_float_denorm_mode_16_64 3
		.amdhsa_dx10_clamp 1
		.amdhsa_ieee_mode 1
		.amdhsa_fp16_overflow 0
		.amdhsa_exception_fp_ieee_invalid_op 0
		.amdhsa_exception_fp_denorm_src 0
		.amdhsa_exception_fp_ieee_div_zero 0
		.amdhsa_exception_fp_ieee_overflow 0
		.amdhsa_exception_fp_ieee_underflow 0
		.amdhsa_exception_fp_ieee_inexact 0
		.amdhsa_exception_int_div_zero 0
	.end_amdhsa_kernel
	.text
.Lfunc_end0:
	.size	bluestein_single_back_len1470_dim1_half_op_CI_CI, .Lfunc_end0-bluestein_single_back_len1470_dim1_half_op_CI_CI
                                        ; -- End function
	.section	.AMDGPU.csdata,"",@progbits
; Kernel info:
; codeLenInByte = 13960
; NumSgprs: 29
; NumVgprs: 75
; ScratchSize: 0
; MemoryBound: 0
; FloatMode: 240
; IeeeMode: 1
; LDSByteSize: 5880 bytes/workgroup (compile time only)
; SGPRBlocks: 3
; VGPRBlocks: 18
; NumSGPRsForWavesPerEU: 29
; NumVGPRsForWavesPerEU: 75
; Occupancy: 3
; WaveLimiterHint : 1
; COMPUTE_PGM_RSRC2:SCRATCH_EN: 0
; COMPUTE_PGM_RSRC2:USER_SGPR: 6
; COMPUTE_PGM_RSRC2:TRAP_HANDLER: 0
; COMPUTE_PGM_RSRC2:TGID_X_EN: 1
; COMPUTE_PGM_RSRC2:TGID_Y_EN: 0
; COMPUTE_PGM_RSRC2:TGID_Z_EN: 0
; COMPUTE_PGM_RSRC2:TIDIG_COMP_CNT: 0
	.type	__hip_cuid_3322f706713b67b,@object ; @__hip_cuid_3322f706713b67b
	.section	.bss,"aw",@nobits
	.globl	__hip_cuid_3322f706713b67b
__hip_cuid_3322f706713b67b:
	.byte	0                               ; 0x0
	.size	__hip_cuid_3322f706713b67b, 1

	.ident	"AMD clang version 19.0.0git (https://github.com/RadeonOpenCompute/llvm-project roc-6.4.0 25133 c7fe45cf4b819c5991fe208aaa96edf142730f1d)"
	.section	".note.GNU-stack","",@progbits
	.addrsig
	.addrsig_sym __hip_cuid_3322f706713b67b
	.amdgpu_metadata
---
amdhsa.kernels:
  - .args:
      - .actual_access:  read_only
        .address_space:  global
        .offset:         0
        .size:           8
        .value_kind:     global_buffer
      - .actual_access:  read_only
        .address_space:  global
        .offset:         8
        .size:           8
        .value_kind:     global_buffer
      - .actual_access:  read_only
        .address_space:  global
        .offset:         16
        .size:           8
        .value_kind:     global_buffer
      - .actual_access:  read_only
        .address_space:  global
        .offset:         24
        .size:           8
        .value_kind:     global_buffer
      - .actual_access:  read_only
        .address_space:  global
        .offset:         32
        .size:           8
        .value_kind:     global_buffer
      - .offset:         40
        .size:           8
        .value_kind:     by_value
      - .address_space:  global
        .offset:         48
        .size:           8
        .value_kind:     global_buffer
      - .address_space:  global
        .offset:         56
        .size:           8
        .value_kind:     global_buffer
      - .address_space:  global
        .offset:         64
        .size:           8
        .value_kind:     global_buffer
      - .address_space:  global
        .offset:         72
        .size:           8
        .value_kind:     global_buffer
      - .offset:         80
        .size:           4
        .value_kind:     by_value
      - .address_space:  global
        .offset:         88
        .size:           8
        .value_kind:     global_buffer
      - .address_space:  global
        .offset:         96
        .size:           8
        .value_kind:     global_buffer
    .group_segment_fixed_size: 5880
    .kernarg_segment_align: 8
    .kernarg_segment_size: 104
    .language:       OpenCL C
    .language_version:
      - 2
      - 0
    .max_flat_workgroup_size: 210
    .name:           bluestein_single_back_len1470_dim1_half_op_CI_CI
    .private_segment_fixed_size: 0
    .sgpr_count:     29
    .sgpr_spill_count: 0
    .symbol:         bluestein_single_back_len1470_dim1_half_op_CI_CI.kd
    .uniform_work_group_size: 1
    .uses_dynamic_stack: false
    .vgpr_count:     75
    .vgpr_spill_count: 0
    .wavefront_size: 64
amdhsa.target:   amdgcn-amd-amdhsa--gfx906
amdhsa.version:
  - 1
  - 2
...

	.end_amdgpu_metadata
